;; amdgpu-corpus repo=pytorch/pytorch kind=compiled arch=gfx1250 opt=O3
	.amdgcn_target "amdgcn-amd-amdhsa--gfx1250"
	.amdhsa_code_object_version 6
	.section	.text._ZN2at6native12_GLOBAL__N_115adaptivemaxpoolIdEEvPKT_PS3_Pliiiilll,"axG",@progbits,_ZN2at6native12_GLOBAL__N_115adaptivemaxpoolIdEEvPKT_PS3_Pliiiilll,comdat
	.globl	_ZN2at6native12_GLOBAL__N_115adaptivemaxpoolIdEEvPKT_PS3_Pliiiilll ; -- Begin function _ZN2at6native12_GLOBAL__N_115adaptivemaxpoolIdEEvPKT_PS3_Pliiiilll
	.p2align	8
	.type	_ZN2at6native12_GLOBAL__N_115adaptivemaxpoolIdEEvPKT_PS3_Pliiiilll,@function
_ZN2at6native12_GLOBAL__N_115adaptivemaxpoolIdEEvPKT_PS3_Pliiiilll: ; @_ZN2at6native12_GLOBAL__N_115adaptivemaxpoolIdEEvPKT_PS3_Pliiiilll
; %bb.0:
	s_clause 0x1
	s_load_b32 s3, s[0:1], 0x4c
	s_load_b128 s[8:11], s[0:1], 0x18
	s_bfe_u32 s2, ttmp6, 0x40010
	s_bfe_u32 s5, ttmp6, 0x40004
	s_add_co_i32 s2, s2, 1
	s_getreg_b32 s4, hwreg(HW_REG_IB_STS2, 6, 4)
	s_mul_i32 s2, ttmp7, s2
	v_bfe_u32 v1, v0, 10, 10
	s_add_co_i32 s5, s5, s2
	s_mov_b32 s6, 0
	s_wait_kmcnt 0x0
	s_lshr_b32 s2, s3, 16
	s_cmp_eq_u32 s4, 0
	s_cselect_b32 s5, ttmp7, s5
	s_delay_alu instid0(SALU_CYCLE_1) | instskip(SKIP_1) | instid1(VALU_DEP_1)
	v_mad_u32 v2, s5, s2, v1
	s_mov_b32 s5, exec_lo
	v_cmpx_gt_i32_e64 s10, v2
	s_cbranch_execz .LBB0_38
; %bb.1:
	s_bfe_u32 s5, ttmp6, 0x4000c
	s_and_b32 s7, ttmp6, 15
	s_add_co_i32 s5, s5, 1
	s_and_b32 s33, s3, 0xffff
	s_mul_i32 s5, ttmp9, s5
	s_mov_b32 s12, s10
	s_add_co_i32 s7, s7, s5
	s_cmp_eq_u32 s4, 0
	v_cvt_f32_u32_e32 v1, s12
	s_cselect_b32 s4, ttmp9, s7
	s_ashr_i32 s38, s10, 31
	v_and_b32_e32 v24, 0x3ff, v0
	s_add_co_i32 s3, s10, s38
	v_rcp_iflag_f32_e32 v1, v1
	s_xor_b32 s39, s3, s38
	s_add_nc_u64 s[20:21], s[0:1], 64
	v_cvt_f32_u32_e32 v3, s39
	s_clause 0x3
	s_load_b128 s[28:31], s[0:1], 0x0
	s_load_b64 s[24:25], s[0:1], 0x10
	s_load_b128 s[40:43], s[0:1], 0x28
	s_load_b64 s[34:35], s[0:1], 0x38
	s_wait_xcnt 0x0
	s_sub_co_i32 s0, 0, s10
	s_sub_co_i32 s3, 0, s39
	s_load_b32 s1, s[20:21], 0x4
	v_rcp_iflag_f32_e32 v3, v3
	v_mul_f32_e32 v0, 0x4f7ffffe, v1
	s_ashr_i32 s5, s4, 31
	s_ashr_i32 s13, s10, 31
	s_mov_b32 s14, s8
	s_mov_b32 s16, s11
	;; [unrolled: 1-line block ×3, first 2 shown]
	v_mul_f32_e32 v3, 0x4f7ffffe, v3
	v_cvt_u32_f32_e32 v0, v0
	s_wait_xcnt 0x0
	s_mov_b64 s[20:21], 0xffffffff
	s_ashr_i32 s15, s8, 31
	s_ashr_i32 s17, s11, 31
	v_cvt_u32_f32_e32 v3, v3
	v_mul_lo_u32 v4, s0, v0
	v_cmp_gt_i32_e64 s0, s11, v24
	s_ashr_i32 s19, s9, 31
	v_mul_lo_u32 v5, s3, v3
	s_mul_i32 s3, s10, s4
	s_wait_kmcnt 0x0
	s_mul_u64 s[4:5], s[40:41], s[4:5]
	s_mul_i32 s22, s3, s11
	s_lshl_b64 s[4:5], s[4:5], 3
	s_ashr_i32 s23, s22, 31
	s_mul_i32 s40, s1, s2
	v_mul_hi_u32 v4, v0, v4
	s_lshl_b64 s[26:27], s[22:23], 3
	s_add_nc_u64 s[28:29], s[28:29], s[4:5]
	s_add_nc_u64 s[22:23], s[30:31], s[26:27]
	v_mul_hi_u32 v5, v3, v5
	v_mov_b32_e32 v1, 0
	s_add_nc_u64 s[24:25], s[24:25], s[26:27]
	s_lshl_b64 s[26:27], s[42:43], 3
	s_lshl_b64 s[30:31], s[34:35], 3
	s_ashr_i32 s34, s13, 31
	s_mov_b32 s41, 0
	s_delay_alu instid0(VALU_DEP_2)
	v_dual_add_nc_u32 v26, v0, v4 :: v_dual_add_nc_u32 v25, v3, v5
	s_branch .LBB0_3
.LBB0_2:                                ;   in Loop: Header=BB0_3 Depth=1
	s_or_b32 exec_lo, exec_lo, s35
	v_add_nc_u32_e32 v2, s40, v2
	s_delay_alu instid0(VALU_DEP_1) | instskip(SKIP_1) | instid1(SALU_CYCLE_1)
	v_cmp_le_i32_e32 vcc_lo, s10, v2
	s_or_b32 s41, vcc_lo, s41
	s_and_not1_b32 exec_lo, exec_lo, s41
	s_cbranch_execz .LBB0_38
.LBB0_3:                                ; =>This Loop Header: Depth=1
                                        ;     Child Loop BB0_19 Depth 2
                                        ;       Child Loop BB0_34 Depth 3
                                        ;         Child Loop BB0_36 Depth 4
	v_dual_mov_b32 v4, v1 :: v_dual_ashrrev_i32 v3, 31, v2
	s_mov_b32 s1, exec_lo
                                        ; implicit-def: $vgpr6_vgpr7
	s_delay_alu instid0(VALU_DEP_1) | instskip(NEXT) | instid1(VALU_DEP_1)
	v_or_b32_e32 v5, s13, v3
	v_cmpx_ne_u64_e32 0, v[4:5]
	s_xor_b32 s1, exec_lo, s1
	s_cbranch_execz .LBB0_5
; %bb.4:                                ;   in Loop: Header=BB0_3 Depth=1
	v_ashrrev_i32_e32 v0, 31, v2
	s_delay_alu instid0(VALU_DEP_1) | instskip(NEXT) | instid1(VALU_DEP_1)
	v_add_nc_u32_e32 v4, v2, v0
	v_xor_b32_e32 v4, v4, v0
	s_delay_alu instid0(VALU_DEP_1) | instskip(NEXT) | instid1(VALU_DEP_1)
	v_mul_hi_u32 v5, v4, v25
	v_mul_lo_u32 v6, v5, s39
	s_delay_alu instid0(VALU_DEP_1) | instskip(SKIP_1) | instid1(VALU_DEP_2)
	v_dual_sub_nc_u32 v4, v4, v6 :: v_dual_add_nc_u32 v6, 1, v5
	v_xor_b32_e32 v0, s38, v0
	v_subrev_nc_u32_e32 v7, s39, v4
	v_cmp_le_u32_e32 vcc_lo, s39, v4
	s_delay_alu instid0(VALU_DEP_2) | instskip(NEXT) | instid1(VALU_DEP_1)
	v_dual_cndmask_b32 v4, v4, v7 :: v_dual_cndmask_b32 v5, v5, v6
	v_cmp_le_u32_e32 vcc_lo, s39, v4
	s_delay_alu instid0(VALU_DEP_2) | instskip(NEXT) | instid1(VALU_DEP_1)
	v_add_nc_u32_e32 v6, 1, v5
	v_cndmask_b32_e32 v4, v5, v6, vcc_lo
	s_delay_alu instid0(VALU_DEP_1) | instskip(NEXT) | instid1(VALU_DEP_1)
	v_xor_b32_e32 v4, v4, v0
	v_sub_nc_u32_e32 v6, v4, v0
	s_delay_alu instid0(VALU_DEP_1)
	v_ashrrev_i32_e32 v7, 31, v6
.LBB0_5:                                ;   in Loop: Header=BB0_3 Depth=1
	s_and_not1_saveexec_b32 s1, s1
	s_cbranch_execz .LBB0_7
; %bb.6:                                ;   in Loop: Header=BB0_3 Depth=1
	v_mul_hi_u32 v0, v2, v26
	s_delay_alu instid0(VALU_DEP_1) | instskip(SKIP_1) | instid1(VALU_DEP_2)
	v_mul_lo_u32 v4, v0, s12
	v_add_nc_u32_e32 v5, 1, v0
	v_sub_nc_u32_e32 v4, v2, v4
	s_delay_alu instid0(VALU_DEP_1) | instskip(NEXT) | instid1(VALU_DEP_3)
	v_cmp_le_u32_e32 vcc_lo, s12, v4
	v_cndmask_b32_e32 v0, v0, v5, vcc_lo
	v_subrev_nc_u32_e32 v6, s12, v4
	s_delay_alu instid0(VALU_DEP_1) | instskip(NEXT) | instid1(VALU_DEP_1)
	v_dual_cndmask_b32 v4, v4, v6 :: v_dual_add_nc_u32 v5, 1, v0
	v_cmp_le_u32_e32 vcc_lo, s12, v4
	s_delay_alu instid0(VALU_DEP_2) | instskip(NEXT) | instid1(VALU_DEP_1)
	v_cndmask_b32_e32 v0, v0, v5, vcc_lo
	v_mov_b64_e32 v[6:7], v[0:1]
.LBB0_7:                                ;   in Loop: Header=BB0_3 Depth=1
	s_or_b32 exec_lo, exec_lo, s1
	s_delay_alu instid0(VALU_DEP_1) | instskip(SKIP_1) | instid1(VALU_DEP_2)
	v_mul_u64_e32 v[4:5], s[12:13], v[6:7]
	v_mov_b32_e32 v8, v1
	v_sub_nc_u64_e32 v[4:5], v[2:3], v[4:5]
	s_delay_alu instid0(VALU_DEP_1) | instskip(NEXT) | instid1(VALU_DEP_1)
	v_mul_u64_e32 v[4:5], s[14:15], v[4:5]
	v_or_b32_e32 v9, s13, v5
	s_delay_alu instid0(VALU_DEP_1) | instskip(SKIP_1) | instid1(SALU_CYCLE_1)
	v_cmp_ne_u64_e32 vcc_lo, 0, v[8:9]
                                        ; implicit-def: $vgpr8_vgpr9
	s_and_saveexec_b32 s1, vcc_lo
	s_xor_b32 s4, exec_lo, s1
	s_cbranch_execz .LBB0_9
; %bb.8:                                ;   in Loop: Header=BB0_3 Depth=1
	s_mov_b32 s35, s34
	s_mov_b32 s45, s6
	s_add_nc_u64 s[2:3], s[12:13], s[34:35]
	s_mov_b32 s49, s6
	s_xor_b64 s[2:3], s[2:3], s[34:35]
	v_dual_mov_b32 v13, v1 :: v_dual_ashrrev_i32 v8, 31, v5
	s_cvt_f32_u32 s1, s2
	s_cvt_f32_u32 s5, s3
	s_sub_nc_u64 s[42:43], 0, s[2:3]
	s_delay_alu instid0(VALU_DEP_1) | instskip(NEXT) | instid1(SALU_CYCLE_1)
	v_dual_mov_b32 v9, v8 :: v_dual_mov_b32 v17, v1
	s_fmamk_f32 s1, s5, 0x4f800000, s1
	s_delay_alu instid0(VALU_DEP_1) | instskip(NEXT) | instid1(SALU_CYCLE_2)
	v_add_nc_u64_e32 v[4:5], v[4:5], v[8:9]
	v_s_rcp_f32 s1, s1
	s_delay_alu instid0(VALU_DEP_1) | instskip(NEXT) | instid1(VALU_DEP_2)
	v_xor_b32_e32 v0, v4, v8
	v_xor_b32_e32 v12, v5, v8
	s_delay_alu instid0(TRANS32_DEP_1) | instskip(SKIP_1) | instid1(SALU_CYCLE_2)
	s_mul_f32 s1, s1, 0x5f7ffffc
	v_xor_b32_e32 v8, s34, v8
	s_mul_f32 s5, s1, 0x2f800000
	s_delay_alu instid0(SALU_CYCLE_3) | instskip(NEXT) | instid1(SALU_CYCLE_3)
	s_trunc_f32 s5, s5
	s_fmamk_f32 s1, s5, 0xcf800000, s1
	s_cvt_u32_f32 s37, s5
	s_delay_alu instid0(SALU_CYCLE_2) | instskip(NEXT) | instid1(SALU_CYCLE_3)
	s_cvt_u32_f32 s36, s1
	s_mul_u64 s[46:47], s[42:43], s[36:37]
	s_delay_alu instid0(SALU_CYCLE_1)
	s_mul_hi_u32 s51, s36, s47
	s_mul_i32 s50, s36, s47
	s_mul_hi_u32 s44, s36, s46
	s_mul_i32 s5, s37, s46
	s_add_nc_u64 s[44:45], s[44:45], s[50:51]
	s_mul_hi_u32 s1, s37, s46
	s_mul_hi_u32 s7, s37, s47
	s_add_co_u32 s5, s44, s5
	s_add_co_ci_u32 s48, s45, s1
	s_mul_i32 s46, s37, s47
	s_add_co_ci_u32 s47, s7, 0
	s_delay_alu instid0(SALU_CYCLE_1) | instskip(SKIP_3) | instid1(SALU_CYCLE_1)
	s_add_nc_u64 s[44:45], s[48:49], s[46:47]
	s_mov_b32 s47, s6
	s_add_co_u32 s36, s36, s44
	s_cselect_b32 s1, -1, 0
	s_cmp_lg_u32 s1, 0
	s_add_co_ci_u32 s37, s37, s45
	s_mov_b32 s45, s6
	s_mul_u64 s[42:43], s[42:43], s[36:37]
	s_delay_alu instid0(SALU_CYCLE_1)
	s_mul_hi_u32 s49, s36, s43
	s_mul_i32 s48, s36, s43
	s_mul_hi_u32 s46, s36, s42
	s_mul_i32 s5, s37, s42
	s_add_nc_u64 s[46:47], s[46:47], s[48:49]
	s_mul_hi_u32 s1, s37, s42
	s_mul_hi_u32 s7, s37, s43
	s_add_co_u32 s5, s46, s5
	s_add_co_ci_u32 s44, s47, s1
	s_mul_i32 s42, s37, s43
	s_add_co_ci_u32 s43, s7, 0
	s_delay_alu instid0(SALU_CYCLE_1) | instskip(NEXT) | instid1(SALU_CYCLE_1)
	s_add_nc_u64 s[42:43], s[44:45], s[42:43]
	s_add_co_u32 s36, s36, s42
	s_cselect_b32 s1, -1, 0
	v_mul_hi_u32 v16, v0, s36
	s_cmp_lg_u32 s1, 0
	s_add_co_ci_u32 s44, s37, s43
	s_and_b64 s[42:43], s[36:37], s[20:21]
	v_mul_u64_e32 v[10:11], s[44:45], v[0:1]
	v_mul_u64_e32 v[4:5], s[42:43], v[12:13]
	;; [unrolled: 1-line block ×3, first 2 shown]
	s_delay_alu instid0(VALU_DEP_3) | instskip(NEXT) | instid1(VALU_DEP_1)
	v_add_nc_u64_e32 v[10:11], v[16:17], v[10:11]
	v_add_co_u32 v4, vcc_lo, v10, v4
	s_delay_alu instid0(VALU_DEP_2) | instskip(NEXT) | instid1(VALU_DEP_4)
	v_add_co_ci_u32_e32 v16, vcc_lo, v11, v5, vcc_lo
	v_add_co_ci_u32_e32 v15, vcc_lo, 0, v15, vcc_lo
	s_delay_alu instid0(VALU_DEP_1) | instskip(NEXT) | instid1(VALU_DEP_1)
	v_add_nc_u64_e32 v[4:5], v[16:17], v[14:15]
	v_mul_u64_e32 v[10:11], s[2:3], v[4:5]
	s_delay_alu instid0(VALU_DEP_1) | instskip(NEXT) | instid1(VALU_DEP_2)
	v_sub_nc_u32_e32 v7, v12, v11
	v_sub_co_u32 v0, vcc_lo, v0, v10
	s_delay_alu instid0(VALU_DEP_1) | instskip(NEXT) | instid1(VALU_DEP_3)
	v_sub_co_ci_u32_e64 v14, null, v12, v11, vcc_lo
	v_subrev_co_ci_u32_e64 v7, null, s3, v7, vcc_lo
	s_delay_alu instid0(VALU_DEP_3) | instskip(SKIP_1) | instid1(VALU_DEP_3)
	v_sub_co_u32 v9, s1, v0, s2
	v_add_nc_u64_e32 v[12:13], 1, v[4:5]
	v_subrev_co_ci_u32_e64 v7, null, 0, v7, s1
	s_delay_alu instid0(VALU_DEP_3) | instskip(SKIP_1) | instid1(VALU_DEP_3)
	v_cmp_le_u32_e32 vcc_lo, s2, v9
	v_cndmask_b32_e64 v9, 0, -1, vcc_lo
	v_cmp_le_u32_e32 vcc_lo, s3, v7
	v_cndmask_b32_e64 v10, 0, -1, vcc_lo
	;; [unrolled: 2-line block ×4, first 2 shown]
	v_cmp_eq_u32_e32 vcc_lo, s3, v7
	v_cndmask_b32_e32 v7, v10, v9, vcc_lo
	v_cmp_eq_u32_e32 vcc_lo, s3, v14
	v_add_nc_u64_e32 v[10:11], 2, v[4:5]
	v_cndmask_b32_e32 v0, v15, v0, vcc_lo
	s_delay_alu instid0(VALU_DEP_4) | instskip(NEXT) | instid1(VALU_DEP_2)
	v_cmp_ne_u32_e32 vcc_lo, 0, v7
	v_cmp_ne_u32_e64 s1, 0, v0
	s_delay_alu instid0(VALU_DEP_4) | instskip(NEXT) | instid1(VALU_DEP_1)
	v_dual_cndmask_b32 v7, v13, v11 :: v_dual_cndmask_b32 v0, v12, v10
	v_dual_cndmask_b32 v5, v5, v7, s1 :: v_dual_cndmask_b32 v0, v4, v0, s1
	s_delay_alu instid0(VALU_DEP_1) | instskip(NEXT) | instid1(VALU_DEP_2)
	v_dual_mov_b32 v9, v8 :: v_dual_bitop2_b32 v5, v5, v8 bitop3:0x14
	v_xor_b32_e32 v4, v0, v8
	s_delay_alu instid0(VALU_DEP_1)
	v_sub_nc_u64_e32 v[8:9], v[4:5], v[8:9]
                                        ; implicit-def: $vgpr4_vgpr5
.LBB0_9:                                ;   in Loop: Header=BB0_3 Depth=1
	s_and_not1_saveexec_b32 s1, s4
	s_cbranch_execz .LBB0_11
; %bb.10:                               ;   in Loop: Header=BB0_3 Depth=1
	s_delay_alu instid0(VALU_DEP_3) | instskip(NEXT) | instid1(VALU_DEP_1)
	v_mul_hi_u32 v0, v4, v26
	v_mul_lo_u32 v5, v0, s12
	s_delay_alu instid0(VALU_DEP_1) | instskip(NEXT) | instid1(VALU_DEP_1)
	v_dual_sub_nc_u32 v4, v4, v5 :: v_dual_add_nc_u32 v5, 1, v0
	v_subrev_nc_u32_e32 v7, s12, v4
	v_cmp_le_u32_e32 vcc_lo, s12, v4
	s_delay_alu instid0(VALU_DEP_3) | instskip(NEXT) | instid1(VALU_DEP_1)
	v_cndmask_b32_e32 v0, v0, v5, vcc_lo
	v_dual_cndmask_b32 v4, v4, v7 :: v_dual_add_nc_u32 v5, 1, v0
	s_delay_alu instid0(VALU_DEP_1) | instskip(NEXT) | instid1(VALU_DEP_2)
	v_cmp_le_u32_e32 vcc_lo, s12, v4
	v_cndmask_b32_e32 v0, v0, v5, vcc_lo
	s_delay_alu instid0(VALU_DEP_1)
	v_mov_b64_e32 v[8:9], v[0:1]
.LBB0_11:                               ;   in Loop: Header=BB0_3 Depth=1
	s_or_b32 exec_lo, exec_lo, s1
	v_add_nc_u64_e32 v[10:11], 1, v[2:3]
	s_delay_alu instid0(VALU_DEP_1) | instskip(NEXT) | instid1(VALU_DEP_1)
	v_mad_nc_u64_u32 v[4:5], v10, s14, -1
	v_mad_u32 v0, v11, s14, v5
	s_delay_alu instid0(VALU_DEP_1) | instskip(NEXT) | instid1(VALU_DEP_1)
	v_mad_u32 v5, v10, s15, v0
	v_dual_mov_b32 v10, v1 :: v_dual_bitop2_b32 v11, s13, v5 bitop3:0x54
	s_delay_alu instid0(VALU_DEP_1) | instskip(SKIP_1) | instid1(SALU_CYCLE_1)
	v_cmp_ne_u64_e32 vcc_lo, 0, v[10:11]
                                        ; implicit-def: $vgpr10_vgpr11
	s_and_saveexec_b32 s1, vcc_lo
	s_xor_b32 s4, exec_lo, s1
	s_cbranch_execnz .LBB0_14
; %bb.12:                               ;   in Loop: Header=BB0_3 Depth=1
	s_and_not1_saveexec_b32 s1, s4
	s_cbranch_execnz .LBB0_15
.LBB0_13:                               ;   in Loop: Header=BB0_3 Depth=1
	s_or_b32 exec_lo, exec_lo, s1
	s_and_saveexec_b32 s35, s0
	s_cbranch_execz .LBB0_2
	s_branch .LBB0_16
.LBB0_14:                               ;   in Loop: Header=BB0_3 Depth=1
	s_mov_b32 s35, s34
	s_mov_b32 s45, s6
	s_add_nc_u64 s[2:3], s[12:13], s[34:35]
	s_mov_b32 s49, s6
	s_xor_b64 s[2:3], s[2:3], s[34:35]
	v_dual_mov_b32 v15, v1 :: v_dual_ashrrev_i32 v10, 31, v5
	s_cvt_f32_u32 s1, s2
	s_cvt_f32_u32 s5, s3
	s_sub_nc_u64 s[42:43], 0, s[2:3]
	s_delay_alu instid0(VALU_DEP_1) | instskip(NEXT) | instid1(SALU_CYCLE_1)
	v_mov_b32_e32 v11, v10
	s_fmamk_f32 s1, s5, 0x4f800000, s1
	s_delay_alu instid0(VALU_DEP_1) | instskip(NEXT) | instid1(SALU_CYCLE_2)
	v_add_nc_u64_e32 v[4:5], v[4:5], v[10:11]
	v_s_rcp_f32 s1, s1
	s_delay_alu instid0(VALU_DEP_1) | instskip(NEXT) | instid1(VALU_DEP_2)
	v_xor_b32_e32 v0, v4, v10
	v_xor_b32_e32 v14, v5, v10
	s_delay_alu instid0(TRANS32_DEP_1) | instskip(SKIP_1) | instid1(SALU_CYCLE_2)
	s_mul_f32 s1, s1, 0x5f7ffffc
	v_dual_mov_b32 v19, v1 :: v_dual_bitop2_b32 v10, s34, v10 bitop3:0x14
	s_mul_f32 s5, s1, 0x2f800000
	s_delay_alu instid0(SALU_CYCLE_3) | instskip(NEXT) | instid1(SALU_CYCLE_3)
	s_trunc_f32 s5, s5
	s_fmamk_f32 s1, s5, 0xcf800000, s1
	s_cvt_u32_f32 s37, s5
	s_delay_alu instid0(SALU_CYCLE_2) | instskip(NEXT) | instid1(SALU_CYCLE_3)
	s_cvt_u32_f32 s36, s1
	s_mul_u64 s[46:47], s[42:43], s[36:37]
	s_delay_alu instid0(SALU_CYCLE_1)
	s_mul_hi_u32 s51, s36, s47
	s_mul_i32 s50, s36, s47
	s_mul_hi_u32 s44, s36, s46
	s_mul_i32 s5, s37, s46
	s_add_nc_u64 s[44:45], s[44:45], s[50:51]
	s_mul_hi_u32 s1, s37, s46
	s_mul_hi_u32 s7, s37, s47
	s_add_co_u32 s5, s44, s5
	s_add_co_ci_u32 s48, s45, s1
	s_mul_i32 s46, s37, s47
	s_add_co_ci_u32 s47, s7, 0
	s_delay_alu instid0(SALU_CYCLE_1) | instskip(SKIP_3) | instid1(SALU_CYCLE_1)
	s_add_nc_u64 s[44:45], s[48:49], s[46:47]
	s_mov_b32 s47, s6
	s_add_co_u32 s36, s36, s44
	s_cselect_b32 s1, -1, 0
	s_cmp_lg_u32 s1, 0
	s_add_co_ci_u32 s37, s37, s45
	s_mov_b32 s45, s6
	s_mul_u64 s[42:43], s[42:43], s[36:37]
	s_delay_alu instid0(SALU_CYCLE_1)
	s_mul_hi_u32 s49, s36, s43
	s_mul_i32 s48, s36, s43
	s_mul_hi_u32 s46, s36, s42
	s_mul_i32 s5, s37, s42
	s_add_nc_u64 s[46:47], s[46:47], s[48:49]
	s_mul_hi_u32 s1, s37, s42
	s_mul_hi_u32 s7, s37, s43
	s_add_co_u32 s5, s46, s5
	s_add_co_ci_u32 s44, s47, s1
	s_mul_i32 s42, s37, s43
	s_add_co_ci_u32 s43, s7, 0
	s_delay_alu instid0(SALU_CYCLE_1) | instskip(NEXT) | instid1(SALU_CYCLE_1)
	s_add_nc_u64 s[42:43], s[44:45], s[42:43]
	s_add_co_u32 s36, s36, s42
	s_cselect_b32 s1, -1, 0
	v_mul_hi_u32 v18, v0, s36
	s_cmp_lg_u32 s1, 0
	s_add_co_ci_u32 s44, s37, s43
	s_and_b64 s[42:43], s[36:37], s[20:21]
	v_mul_u64_e32 v[12:13], s[44:45], v[0:1]
	v_mul_u64_e32 v[4:5], s[42:43], v[14:15]
	;; [unrolled: 1-line block ×3, first 2 shown]
	s_delay_alu instid0(VALU_DEP_3) | instskip(NEXT) | instid1(VALU_DEP_1)
	v_add_nc_u64_e32 v[12:13], v[18:19], v[12:13]
	v_add_co_u32 v3, vcc_lo, v12, v4
	s_delay_alu instid0(VALU_DEP_2) | instskip(NEXT) | instid1(VALU_DEP_4)
	v_add_co_ci_u32_e32 v18, vcc_lo, v13, v5, vcc_lo
	v_add_co_ci_u32_e32 v17, vcc_lo, 0, v17, vcc_lo
	s_delay_alu instid0(VALU_DEP_1) | instskip(NEXT) | instid1(VALU_DEP_1)
	v_add_nc_u64_e32 v[4:5], v[18:19], v[16:17]
	v_mul_u64_e32 v[12:13], s[2:3], v[4:5]
	s_delay_alu instid0(VALU_DEP_1) | instskip(NEXT) | instid1(VALU_DEP_2)
	v_sub_nc_u32_e32 v3, v14, v13
	v_sub_co_u32 v0, vcc_lo, v0, v12
	s_delay_alu instid0(VALU_DEP_1) | instskip(NEXT) | instid1(VALU_DEP_3)
	v_sub_co_ci_u32_e64 v11, null, v14, v13, vcc_lo
	v_subrev_co_ci_u32_e64 v3, null, s3, v3, vcc_lo
	s_delay_alu instid0(VALU_DEP_3) | instskip(SKIP_1) | instid1(VALU_DEP_3)
	v_sub_co_u32 v7, s1, v0, s2
	v_add_nc_u64_e32 v[14:15], 1, v[4:5]
	v_subrev_co_ci_u32_e64 v3, null, 0, v3, s1
	s_delay_alu instid0(VALU_DEP_3) | instskip(SKIP_1) | instid1(VALU_DEP_3)
	v_cmp_le_u32_e32 vcc_lo, s2, v7
	v_cndmask_b32_e64 v7, 0, -1, vcc_lo
	v_cmp_le_u32_e32 vcc_lo, s3, v3
	v_cndmask_b32_e64 v12, 0, -1, vcc_lo
	;; [unrolled: 2-line block ×4, first 2 shown]
	v_cmp_eq_u32_e32 vcc_lo, s3, v3
	v_cndmask_b32_e32 v3, v12, v7, vcc_lo
	v_cmp_eq_u32_e32 vcc_lo, s3, v11
	v_add_nc_u64_e32 v[12:13], 2, v[4:5]
	v_cndmask_b32_e32 v0, v16, v0, vcc_lo
	s_delay_alu instid0(VALU_DEP_4) | instskip(NEXT) | instid1(VALU_DEP_3)
	v_cmp_ne_u32_e32 vcc_lo, 0, v3
	v_cndmask_b32_e32 v3, v15, v13, vcc_lo
	s_delay_alu instid0(VALU_DEP_3) | instskip(NEXT) | instid1(VALU_DEP_1)
	v_cmp_ne_u32_e64 s1, 0, v0
	v_dual_cndmask_b32 v0, v14, v12, vcc_lo :: v_dual_cndmask_b32 v3, v5, v3, s1
	s_delay_alu instid0(VALU_DEP_1) | instskip(NEXT) | instid1(VALU_DEP_2)
	v_dual_cndmask_b32 v0, v4, v0, s1 :: v_dual_mov_b32 v11, v10
	v_xor_b32_e32 v5, v3, v10
	s_delay_alu instid0(VALU_DEP_2) | instskip(NEXT) | instid1(VALU_DEP_1)
	v_xor_b32_e32 v4, v0, v10
	v_sub_nc_u64_e32 v[10:11], v[4:5], v[10:11]
                                        ; implicit-def: $vgpr4_vgpr5
	s_and_not1_saveexec_b32 s1, s4
	s_cbranch_execz .LBB0_13
.LBB0_15:                               ;   in Loop: Header=BB0_3 Depth=1
	v_mul_hi_u32 v0, v4, v26
	s_delay_alu instid0(VALU_DEP_1) | instskip(NEXT) | instid1(VALU_DEP_1)
	v_mul_lo_u32 v3, v0, s12
	v_dual_sub_nc_u32 v3, v4, v3 :: v_dual_add_nc_u32 v4, 1, v0
	s_delay_alu instid0(VALU_DEP_1) | instskip(SKIP_1) | instid1(VALU_DEP_2)
	v_subrev_nc_u32_e32 v5, s12, v3
	v_cmp_le_u32_e32 vcc_lo, s12, v3
	v_dual_cndmask_b32 v3, v3, v5 :: v_dual_cndmask_b32 v0, v0, v4
	s_delay_alu instid0(VALU_DEP_1) | instskip(NEXT) | instid1(VALU_DEP_2)
	v_cmp_le_u32_e32 vcc_lo, s12, v3
	v_add_nc_u32_e32 v4, 1, v0
	s_delay_alu instid0(VALU_DEP_1)
	v_cndmask_b32_e32 v10, v0, v4, vcc_lo
	s_or_b32 exec_lo, exec_lo, s1
	s_and_saveexec_b32 s35, s0
	s_cbranch_execz .LBB0_2
.LBB0_16:                               ;   in Loop: Header=BB0_3 Depth=1
	v_mad_nc_u64_u32 v[12:13], v6, s14, v[8:9]
	v_mul_lo_u32 v14, v2, s11
	v_mad_u32 v28, s8, v6, v8
	s_mov_b32 s42, 0
	s_delay_alu instid0(VALU_DEP_3) | instskip(NEXT) | instid1(VALU_DEP_3)
	v_mad_nc_u64_u32 v[4:5], s26, v12, s[28:29]
	v_ashrrev_i32_e32 v15, 31, v14
	v_mul_lo_u32 v3, s9, v12
	s_delay_alu instid0(VALU_DEP_3) | instskip(SKIP_1) | instid1(VALU_DEP_4)
	v_mad_u32 v0, s27, v12, v5
	v_dual_sub_nc_u32 v5, v10, v12 :: v_dual_ashrrev_i32 v7, 31, v12
	v_lshlrev_b64_e32 v[10:11], 3, v[14:15]
	s_delay_alu instid0(VALU_DEP_2) | instskip(NEXT) | instid1(VALU_DEP_2)
	v_add_nc_u32_e32 v27, 1, v5
	v_add_nc_u64_e32 v[8:9], s[24:25], v[10:11]
	s_delay_alu instid0(VALU_DEP_4) | instskip(SKIP_1) | instid1(VALU_DEP_4)
	v_mad_u32 v5, s26, v7, v0
	v_add_nc_u64_e32 v[6:7], s[22:23], v[10:11]
	v_cmp_lt_i32_e64 s1, 0, v27
	v_mov_b32_e32 v0, v24
	s_branch .LBB0_19
.LBB0_17:                               ;   in Loop: Header=BB0_19 Depth=2
	s_or_b32 exec_lo, exec_lo, s7
.LBB0_18:                               ;   in Loop: Header=BB0_19 Depth=2
	s_delay_alu instid0(SALU_CYCLE_1) | instskip(SKIP_2) | instid1(VALU_DEP_1)
	s_or_b32 exec_lo, exec_lo, s5
	v_lshlrev_b64_e32 v[10:11], 3, v[0:1]
	v_dual_add_nc_u32 v0, s33, v0 :: v_dual_ashrrev_i32 v15, 31, v14
	v_cmp_le_i32_e32 vcc_lo, s11, v0
	s_delay_alu instid0(VALU_DEP_3)
	v_add_nc_u64_e32 v[12:13], v[6:7], v[10:11]
	v_add_nc_u64_e32 v[10:11], v[8:9], v[10:11]
	global_store_b64 v[12:13], v[16:17], off
	global_store_b64 v[10:11], v[14:15], off
	s_or_b32 s42, vcc_lo, s42
	s_wait_xcnt 0x0
	s_and_not1_b32 exec_lo, exec_lo, s42
	s_cbranch_execz .LBB0_2
.LBB0_19:                               ;   Parent Loop BB0_3 Depth=1
                                        ; =>  This Loop Header: Depth=2
                                        ;       Child Loop BB0_34 Depth 3
                                        ;         Child Loop BB0_36 Depth 4
	s_mov_b32 s7, s17
                                        ; implicit-def: $vgpr10_vgpr11
	s_delay_alu instid0(SALU_CYCLE_1) | instskip(SKIP_1) | instid1(SALU_CYCLE_1)
	s_cmp_lg_u64 s[6:7], 0
	s_cselect_b32 s2, -1, 0
	s_and_saveexec_b32 s3, s2
	s_delay_alu instid0(SALU_CYCLE_1)
	s_xor_b32 s3, exec_lo, s3
	s_cbranch_execz .LBB0_21
; %bb.20:                               ;   in Loop: Header=BB0_19 Depth=2
	s_ashr_i32 s4, s17, 31
	s_mov_b32 s49, s6
	s_mov_b32 s5, s4
	;; [unrolled: 1-line block ×3, first 2 shown]
	s_add_nc_u64 s[36:37], s[16:17], s[4:5]
	v_add_nc_u64_e32 v[10:11], 0, v[0:1]
	s_xor_b64 s[36:37], s[36:37], s[4:5]
	v_mov_b32_e32 v13, v1
	s_cvt_f32_u32 s2, s36
	s_cvt_f32_u32 s5, s37
	s_sub_nc_u64 s[46:47], 0, s[36:37]
	s_delay_alu instid0(VALU_DEP_2) | instskip(NEXT) | instid1(SALU_CYCLE_1)
	v_dual_mov_b32 v15, v1 :: v_dual_mov_b32 v14, v11
	s_fmamk_f32 s2, s5, 0x4f800000, s2
	v_dual_mov_b32 v12, v10 :: v_dual_mov_b32 v19, v1
	s_delay_alu instid0(SALU_CYCLE_2) | instskip(NEXT) | instid1(TRANS32_DEP_1)
	v_s_rcp_f32 s2, s2
	s_mul_f32 s2, s2, 0x5f7ffffc
	s_delay_alu instid0(SALU_CYCLE_3) | instskip(NEXT) | instid1(SALU_CYCLE_3)
	s_mul_f32 s5, s2, 0x2f800000
	s_trunc_f32 s5, s5
	s_delay_alu instid0(SALU_CYCLE_3) | instskip(SKIP_1) | instid1(SALU_CYCLE_2)
	s_fmamk_f32 s2, s5, 0xcf800000, s2
	s_cvt_u32_f32 s45, s5
	s_cvt_u32_f32 s44, s2
	s_delay_alu instid0(SALU_CYCLE_3) | instskip(NEXT) | instid1(SALU_CYCLE_1)
	s_mul_u64 s[50:51], s[46:47], s[44:45]
	s_mul_hi_u32 s55, s44, s51
	s_mul_i32 s54, s44, s51
	s_mul_hi_u32 s48, s44, s50
	s_mul_i32 s5, s45, s50
	s_add_nc_u64 s[48:49], s[48:49], s[54:55]
	s_mul_hi_u32 s2, s45, s50
	s_mul_hi_u32 s7, s45, s51
	s_add_co_u32 s5, s48, s5
	s_add_co_ci_u32 s52, s49, s2
	s_mul_i32 s50, s45, s51
	s_add_co_ci_u32 s51, s7, 0
	s_delay_alu instid0(SALU_CYCLE_1) | instskip(SKIP_3) | instid1(SALU_CYCLE_1)
	s_add_nc_u64 s[48:49], s[52:53], s[50:51]
	s_mov_b32 s51, s6
	s_add_co_u32 s44, s44, s48
	s_cselect_b32 s2, -1, 0
	s_cmp_lg_u32 s2, 0
	s_add_co_ci_u32 s45, s45, s49
	s_mov_b32 s49, s6
	s_mul_u64 s[46:47], s[46:47], s[44:45]
	s_delay_alu instid0(SALU_CYCLE_1)
	s_mul_hi_u32 s53, s44, s47
	s_mul_i32 s52, s44, s47
	s_mul_hi_u32 s50, s44, s46
	s_mul_i32 s5, s45, s46
	s_add_nc_u64 s[50:51], s[50:51], s[52:53]
	s_mul_hi_u32 s2, s45, s46
	s_mul_hi_u32 s7, s45, s47
	s_add_co_u32 s5, s50, s5
	s_add_co_ci_u32 s48, s51, s2
	s_mul_i32 s46, s45, s47
	s_add_co_ci_u32 s47, s7, 0
	s_delay_alu instid0(SALU_CYCLE_1) | instskip(NEXT) | instid1(SALU_CYCLE_1)
	s_add_nc_u64 s[46:47], s[48:49], s[46:47]
	s_add_co_u32 s2, s44, s46
	s_cselect_b32 s5, -1, 0
	v_nop
	v_mul_hi_u32 v18, v10, s2
	s_cmp_lg_u32 s5, 0
	s_add_co_ci_u32 s48, s45, s47
	s_and_b64 s[44:45], s[2:3], s[20:21]
	v_mul_u64_e32 v[12:13], s[48:49], v[12:13]
	v_mul_u64_e32 v[16:17], s[44:45], v[14:15]
	;; [unrolled: 1-line block ×3, first 2 shown]
	s_delay_alu instid0(VALU_DEP_3) | instskip(NEXT) | instid1(VALU_DEP_1)
	v_add_nc_u64_e32 v[12:13], v[18:19], v[12:13]
	v_add_co_u32 v12, vcc_lo, v12, v16
	s_delay_alu instid0(VALU_DEP_2) | instskip(NEXT) | instid1(VALU_DEP_4)
	v_add_co_ci_u32_e32 v18, vcc_lo, v13, v17, vcc_lo
	v_add_co_ci_u32_e32 v15, vcc_lo, 0, v15, vcc_lo
	s_delay_alu instid0(VALU_DEP_1) | instskip(NEXT) | instid1(VALU_DEP_1)
	v_add_nc_u64_e32 v[12:13], v[18:19], v[14:15]
	v_mul_u64_e32 v[14:15], s[36:37], v[12:13]
	s_delay_alu instid0(VALU_DEP_1) | instskip(NEXT) | instid1(VALU_DEP_2)
	v_sub_nc_u32_e32 v16, v11, v15
	v_sub_co_u32 v10, vcc_lo, v10, v14
	s_delay_alu instid0(VALU_DEP_1) | instskip(NEXT) | instid1(VALU_DEP_3)
	v_sub_co_ci_u32_e64 v15, null, v11, v15, vcc_lo
	v_subrev_co_ci_u32_e64 v14, null, s37, v16, vcc_lo
	s_delay_alu instid0(VALU_DEP_3) | instskip(SKIP_1) | instid1(VALU_DEP_3)
	v_sub_co_u32 v18, s2, v10, s36
	v_cmp_le_u32_e32 vcc_lo, s36, v10
	v_subrev_co_ci_u32_e64 v14, null, 0, v14, s2
	s_delay_alu instid0(VALU_DEP_3) | instskip(SKIP_2) | instid1(VALU_DEP_4)
	v_cmp_le_u32_e64 s2, s36, v18
	v_add_nc_u64_e32 v[16:17], 2, v[12:13]
	v_cndmask_b32_e64 v20, 0, -1, vcc_lo
	v_cmp_eq_u32_e32 vcc_lo, s37, v14
	v_add_nc_u64_e32 v[10:11], 1, v[12:13]
	v_cndmask_b32_e64 v18, 0, -1, s2
	v_cmp_le_u32_e64 s2, s37, v14
	s_delay_alu instid0(VALU_DEP_1) | instskip(SKIP_1) | instid1(VALU_DEP_2)
	v_cndmask_b32_e64 v19, 0, -1, s2
	v_cmp_eq_u32_e64 s2, s37, v15
	v_cndmask_b32_e32 v14, v19, v18, vcc_lo
	v_cmp_le_u32_e32 vcc_lo, s37, v15
	v_cndmask_b32_e64 v18, 0, -1, vcc_lo
	s_delay_alu instid0(VALU_DEP_3) | instskip(NEXT) | instid1(VALU_DEP_2)
	v_cmp_ne_u32_e32 vcc_lo, 0, v14
	v_dual_cndmask_b32 v14, v18, v20, s2 :: v_dual_cndmask_b32 v11, v11, v17, vcc_lo
	v_cndmask_b32_e32 v10, v10, v16, vcc_lo
	s_delay_alu instid0(VALU_DEP_2) | instskip(NEXT) | instid1(VALU_DEP_2)
	v_cmp_ne_u32_e32 vcc_lo, 0, v14
	v_dual_cndmask_b32 v13, v13, v11 :: v_dual_cndmask_b32 v12, v12, v10
	v_dual_mov_b32 v11, s4 :: v_dual_mov_b32 v10, s4
	s_delay_alu instid0(VALU_DEP_2) | instskip(NEXT) | instid1(VALU_DEP_3)
	v_xor_b32_e32 v13, s4, v13
	v_xor_b32_e32 v12, s4, v12
	s_delay_alu instid0(VALU_DEP_1)
	v_sub_nc_u64_e32 v[10:11], v[12:13], v[10:11]
.LBB0_21:                               ;   in Loop: Header=BB0_19 Depth=2
	s_or_saveexec_b32 s2, s3
	v_cvt_f32_u32_e32 v16, s16
	s_xor_b32 exec_lo, exec_lo, s2
	s_cbranch_execz .LBB0_23
; %bb.22:                               ;   in Loop: Header=BB0_19 Depth=2
	s_delay_alu instid0(VALU_DEP_1) | instskip(SKIP_2) | instid1(TRANS32_DEP_1)
	v_rcp_iflag_f32_e32 v10, v16
	s_sub_co_i32 s3, 0, s16
	v_nop
	v_mul_f32_e32 v10, 0x4f7ffffe, v10
	s_delay_alu instid0(VALU_DEP_1) | instskip(NEXT) | instid1(VALU_DEP_1)
	v_cvt_u32_f32_e32 v10, v10
	v_mul_lo_u32 v11, s3, v10
	s_delay_alu instid0(VALU_DEP_1) | instskip(NEXT) | instid1(VALU_DEP_1)
	v_mul_hi_u32 v11, v10, v11
	v_add_nc_u32_e32 v10, v10, v11
	s_delay_alu instid0(VALU_DEP_1) | instskip(NEXT) | instid1(VALU_DEP_1)
	v_mul_hi_u32 v10, v0, v10
	v_mul_lo_u32 v11, v10, s16
	s_delay_alu instid0(VALU_DEP_1) | instskip(NEXT) | instid1(VALU_DEP_1)
	v_dual_add_nc_u32 v12, 1, v10 :: v_dual_sub_nc_u32 v11, v0, v11
	v_subrev_nc_u32_e32 v13, s16, v11
	v_cmp_le_u32_e32 vcc_lo, s16, v11
	s_delay_alu instid0(VALU_DEP_2) | instskip(NEXT) | instid1(VALU_DEP_1)
	v_dual_cndmask_b32 v11, v11, v13 :: v_dual_cndmask_b32 v10, v10, v12
	v_cmp_le_u32_e32 vcc_lo, s16, v11
	s_delay_alu instid0(VALU_DEP_2) | instskip(NEXT) | instid1(VALU_DEP_1)
	v_dual_mov_b32 v11, v1 :: v_dual_add_nc_u32 v12, 1, v10
	v_cndmask_b32_e32 v10, v10, v12, vcc_lo
.LBB0_23:                               ;   in Loop: Header=BB0_19 Depth=2
	s_or_b32 exec_lo, exec_lo, s2
	s_delay_alu instid0(VALU_DEP_1) | instskip(NEXT) | instid1(VALU_DEP_1)
	v_mul_u64_e32 v[12:13], s[16:17], v[10:11]
	v_sub_nc_u64_e32 v[12:13], v[0:1], v[12:13]
	s_delay_alu instid0(VALU_DEP_1) | instskip(NEXT) | instid1(VALU_DEP_1)
	v_mul_u64_e32 v[14:15], s[18:19], v[12:13]
	v_dual_mov_b32 v12, v1 :: v_dual_bitop2_b32 v13, s17, v15 bitop3:0x54
	s_delay_alu instid0(VALU_DEP_1) | instskip(SKIP_1) | instid1(SALU_CYCLE_1)
	v_cmp_ne_u64_e32 vcc_lo, 0, v[12:13]
                                        ; implicit-def: $vgpr12_vgpr13
	s_and_saveexec_b32 s2, vcc_lo
	s_xor_b32 s3, exec_lo, s2
	s_cbranch_execz .LBB0_25
; %bb.24:                               ;   in Loop: Header=BB0_19 Depth=2
	s_ashr_i32 s4, s17, 31
	s_mov_b32 s49, s6
	s_mov_b32 s5, s4
	;; [unrolled: 1-line block ×3, first 2 shown]
	s_add_nc_u64 s[36:37], s[16:17], s[4:5]
	v_dual_mov_b32 v19, v1 :: v_dual_ashrrev_i32 v12, 31, v15
	s_xor_b64 s[36:37], s[36:37], s[4:5]
	s_delay_alu instid0(SALU_CYCLE_1) | instskip(SKIP_3) | instid1(SALU_CYCLE_1)
	s_cvt_f32_u32 s2, s36
	s_cvt_f32_u32 s5, s37
	s_sub_nc_u64 s[46:47], 0, s[36:37]
	v_mov_b32_e32 v13, v12
	s_fmamk_f32 s2, s5, 0x4f800000, s2
	s_delay_alu instid0(VALU_DEP_1) | instskip(NEXT) | instid1(SALU_CYCLE_2)
	v_add_nc_u64_e32 v[14:15], v[14:15], v[12:13]
	v_s_rcp_f32 s2, s2
	s_delay_alu instid0(VALU_DEP_1) | instskip(NEXT) | instid1(VALU_DEP_2)
	v_dual_mov_b32 v23, v1 :: v_dual_bitop2_b32 v22, v15, v12 bitop3:0x14
	v_xor_b32_e32 v18, v14, v12
	s_delay_alu instid0(TRANS32_DEP_1) | instskip(SKIP_1) | instid1(SALU_CYCLE_2)
	s_mul_f32 s2, s2, 0x5f7ffffc
	v_mov_b32_e32 v33, v1
	s_mul_f32 s5, s2, 0x2f800000
	s_delay_alu instid0(SALU_CYCLE_3) | instskip(NEXT) | instid1(SALU_CYCLE_3)
	s_trunc_f32 s5, s5
	s_fmamk_f32 s2, s5, 0xcf800000, s2
	s_cvt_u32_f32 s45, s5
	s_delay_alu instid0(SALU_CYCLE_2) | instskip(NEXT) | instid1(SALU_CYCLE_3)
	s_cvt_u32_f32 s44, s2
	s_mul_u64 s[50:51], s[46:47], s[44:45]
	s_delay_alu instid0(SALU_CYCLE_1)
	s_mul_hi_u32 s55, s44, s51
	s_mul_i32 s54, s44, s51
	s_mul_hi_u32 s48, s44, s50
	s_mul_i32 s5, s45, s50
	s_add_nc_u64 s[48:49], s[48:49], s[54:55]
	s_mul_hi_u32 s2, s45, s50
	s_mul_hi_u32 s7, s45, s51
	s_add_co_u32 s5, s48, s5
	s_add_co_ci_u32 s52, s49, s2
	s_mul_i32 s50, s45, s51
	s_add_co_ci_u32 s51, s7, 0
	s_delay_alu instid0(SALU_CYCLE_1) | instskip(SKIP_3) | instid1(SALU_CYCLE_1)
	s_add_nc_u64 s[48:49], s[52:53], s[50:51]
	s_mov_b32 s51, s6
	s_add_co_u32 s44, s44, s48
	s_cselect_b32 s2, -1, 0
	s_cmp_lg_u32 s2, 0
	s_add_co_ci_u32 s45, s45, s49
	s_mov_b32 s49, s6
	s_mul_u64 s[46:47], s[46:47], s[44:45]
	s_delay_alu instid0(SALU_CYCLE_1)
	s_mul_hi_u32 s53, s44, s47
	s_mul_i32 s52, s44, s47
	s_mul_hi_u32 s50, s44, s46
	s_mul_i32 s5, s45, s46
	s_add_nc_u64 s[50:51], s[50:51], s[52:53]
	s_mul_hi_u32 s2, s45, s46
	s_mul_hi_u32 s7, s45, s47
	s_add_co_u32 s5, s50, s5
	s_add_co_ci_u32 s48, s51, s2
	s_mul_i32 s46, s45, s47
	s_add_co_ci_u32 s47, s7, 0
	s_delay_alu instid0(SALU_CYCLE_1) | instskip(NEXT) | instid1(SALU_CYCLE_1)
	s_add_nc_u64 s[46:47], s[48:49], s[46:47]
	s_add_co_u32 s2, s44, s46
	s_cselect_b32 s5, -1, 0
	v_mul_hi_u32 v32, v18, s2
	s_cmp_lg_u32 s5, 0
	s_add_co_ci_u32 s48, s45, s47
	s_and_b64 s[44:45], s[2:3], s[20:21]
	v_mul_u64_e32 v[20:21], s[48:49], v[18:19]
	v_mul_u64_e32 v[14:15], s[44:45], v[22:23]
	;; [unrolled: 1-line block ×3, first 2 shown]
	s_delay_alu instid0(VALU_DEP_3) | instskip(NEXT) | instid1(VALU_DEP_1)
	v_add_nc_u64_e32 v[20:21], v[32:33], v[20:21]
	v_add_co_u32 v11, vcc_lo, v20, v14
	s_delay_alu instid0(VALU_DEP_2) | instskip(NEXT) | instid1(VALU_DEP_4)
	v_add_co_ci_u32_e32 v32, vcc_lo, v21, v15, vcc_lo
	v_add_co_ci_u32_e32 v31, vcc_lo, 0, v31, vcc_lo
	s_delay_alu instid0(VALU_DEP_1) | instskip(NEXT) | instid1(VALU_DEP_1)
	v_add_nc_u64_e32 v[14:15], v[32:33], v[30:31]
	v_mul_u64_e32 v[20:21], s[36:37], v[14:15]
	s_delay_alu instid0(VALU_DEP_1) | instskip(NEXT) | instid1(VALU_DEP_2)
	v_sub_nc_u32_e32 v11, v22, v21
	v_sub_co_u32 v13, vcc_lo, v18, v20
	s_delay_alu instid0(VALU_DEP_1) | instskip(NEXT) | instid1(VALU_DEP_3)
	v_sub_co_ci_u32_e64 v22, null, v22, v21, vcc_lo
	v_subrev_co_ci_u32_e64 v11, null, s37, v11, vcc_lo
	s_delay_alu instid0(VALU_DEP_3) | instskip(SKIP_1) | instid1(VALU_DEP_3)
	v_sub_co_u32 v17, s2, v13, s36
	v_add_nc_u64_e32 v[20:21], 1, v[14:15]
	v_subrev_co_ci_u32_e64 v11, null, 0, v11, s2
	s_delay_alu instid0(VALU_DEP_3) | instskip(SKIP_1) | instid1(VALU_DEP_3)
	v_cmp_le_u32_e32 vcc_lo, s36, v17
	v_cndmask_b32_e64 v17, 0, -1, vcc_lo
	v_cmp_le_u32_e32 vcc_lo, s37, v11
	v_cndmask_b32_e64 v18, 0, -1, vcc_lo
	;; [unrolled: 2-line block ×4, first 2 shown]
	v_cmp_eq_u32_e32 vcc_lo, s37, v11
	v_cndmask_b32_e32 v11, v18, v17, vcc_lo
	v_cmp_eq_u32_e32 vcc_lo, s37, v22
	v_add_nc_u64_e32 v[18:19], 2, v[14:15]
	v_cndmask_b32_e32 v13, v23, v13, vcc_lo
	s_delay_alu instid0(VALU_DEP_4) | instskip(NEXT) | instid1(VALU_DEP_3)
	v_cmp_ne_u32_e32 vcc_lo, 0, v11
	v_cndmask_b32_e32 v11, v21, v19, vcc_lo
	s_delay_alu instid0(VALU_DEP_3) | instskip(SKIP_1) | instid1(VALU_DEP_1)
	v_cmp_ne_u32_e64 s2, 0, v13
	v_dual_cndmask_b32 v13, v20, v18, vcc_lo :: v_dual_bitop2_b32 v12, s4, v12 bitop3:0x14
	v_dual_cndmask_b32 v11, v15, v11, s2 :: v_dual_cndmask_b32 v14, v14, v13, s2
	s_delay_alu instid0(VALU_DEP_1) | instskip(NEXT) | instid1(VALU_DEP_2)
	v_dual_mov_b32 v13, v12 :: v_dual_bitop2_b32 v15, v11, v12 bitop3:0x14
	v_xor_b32_e32 v14, v14, v12
	s_delay_alu instid0(VALU_DEP_1)
	v_sub_nc_u64_e32 v[12:13], v[14:15], v[12:13]
                                        ; implicit-def: $vgpr14_vgpr15
.LBB0_25:                               ;   in Loop: Header=BB0_19 Depth=2
	s_and_not1_saveexec_b32 s2, s3
	s_cbranch_execz .LBB0_27
; %bb.26:                               ;   in Loop: Header=BB0_19 Depth=2
	v_rcp_iflag_f32_e32 v11, v16
	s_sub_co_i32 s3, 0, s16
	v_nop
	s_delay_alu instid0(TRANS32_DEP_1) | instskip(NEXT) | instid1(VALU_DEP_1)
	v_mul_f32_e32 v11, 0x4f7ffffe, v11
	v_cvt_u32_f32_e32 v11, v11
	s_delay_alu instid0(VALU_DEP_1) | instskip(NEXT) | instid1(VALU_DEP_1)
	v_mul_lo_u32 v12, s3, v11
	v_mul_hi_u32 v12, v11, v12
	s_delay_alu instid0(VALU_DEP_1) | instskip(NEXT) | instid1(VALU_DEP_1)
	v_add_nc_u32_e32 v11, v11, v12
	v_mul_hi_u32 v11, v14, v11
	s_delay_alu instid0(VALU_DEP_1) | instskip(NEXT) | instid1(VALU_DEP_1)
	v_mul_lo_u32 v12, v11, s16
	v_dual_add_nc_u32 v13, 1, v11 :: v_dual_sub_nc_u32 v12, v14, v12
	s_delay_alu instid0(VALU_DEP_1) | instskip(SKIP_1) | instid1(VALU_DEP_2)
	v_subrev_nc_u32_e32 v14, s16, v12
	v_cmp_le_u32_e32 vcc_lo, s16, v12
	v_dual_cndmask_b32 v12, v12, v14 :: v_dual_cndmask_b32 v11, v11, v13
	s_delay_alu instid0(VALU_DEP_1) | instskip(NEXT) | instid1(VALU_DEP_2)
	v_cmp_le_u32_e32 vcc_lo, s16, v12
	v_add_nc_u32_e32 v13, 1, v11
	s_delay_alu instid0(VALU_DEP_1)
	v_dual_cndmask_b32 v12, v11, v13 :: v_dual_mov_b32 v13, v1
.LBB0_27:                               ;   in Loop: Header=BB0_19 Depth=2
	s_or_b32 exec_lo, exec_lo, s2
	v_dual_mov_b32 v18, v1 :: v_dual_add_nc_u32 v11, 1, v0
                                        ; implicit-def: $vgpr20_vgpr21
	s_mov_b32 s2, exec_lo
	s_delay_alu instid0(VALU_DEP_1) | instskip(NEXT) | instid1(VALU_DEP_1)
	v_mad_nc_u64_u32 v[14:15], v11, s18, -1
	v_mad_u32 v15, v11, s19, v15
	s_delay_alu instid0(VALU_DEP_1) | instskip(NEXT) | instid1(VALU_DEP_1)
	v_or_b32_e32 v19, s17, v15
	v_cmpx_ne_u64_e32 0, v[18:19]
	s_xor_b32 s3, exec_lo, s2
	s_cbranch_execz .LBB0_29
; %bb.28:                               ;   in Loop: Header=BB0_19 Depth=2
	s_ashr_i32 s4, s17, 31
	s_mov_b32 s49, s6
	s_mov_b32 s5, s4
	;; [unrolled: 1-line block ×3, first 2 shown]
	s_add_nc_u64 s[36:37], s[16:17], s[4:5]
	v_dual_mov_b32 v19, v1 :: v_dual_ashrrev_i32 v16, 31, v15
	s_xor_b64 s[36:37], s[36:37], s[4:5]
	s_delay_alu instid0(SALU_CYCLE_1) | instskip(SKIP_3) | instid1(SALU_CYCLE_1)
	s_cvt_f32_u32 s2, s36
	s_cvt_f32_u32 s5, s37
	s_sub_nc_u64 s[46:47], 0, s[36:37]
	v_mov_b32_e32 v17, v16
	s_fmamk_f32 s2, s5, 0x4f800000, s2
	s_delay_alu instid0(VALU_DEP_1) | instskip(NEXT) | instid1(SALU_CYCLE_2)
	v_add_nc_u64_e32 v[14:15], v[14:15], v[16:17]
	v_s_rcp_f32 s2, s2
	s_delay_alu instid0(VALU_DEP_1) | instskip(NEXT) | instid1(VALU_DEP_2)
	v_dual_mov_b32 v23, v1 :: v_dual_bitop2_b32 v22, v15, v16 bitop3:0x14
	v_xor_b32_e32 v18, v14, v16
	s_delay_alu instid0(TRANS32_DEP_1) | instskip(SKIP_1) | instid1(SALU_CYCLE_2)
	s_mul_f32 s2, s2, 0x5f7ffffc
	v_mov_b32_e32 v33, v1
	s_mul_f32 s5, s2, 0x2f800000
	s_delay_alu instid0(SALU_CYCLE_3) | instskip(NEXT) | instid1(SALU_CYCLE_3)
	s_trunc_f32 s5, s5
	s_fmamk_f32 s2, s5, 0xcf800000, s2
	s_cvt_u32_f32 s45, s5
	s_delay_alu instid0(SALU_CYCLE_2) | instskip(NEXT) | instid1(SALU_CYCLE_3)
	s_cvt_u32_f32 s44, s2
	s_mul_u64 s[50:51], s[46:47], s[44:45]
	s_delay_alu instid0(SALU_CYCLE_1)
	s_mul_hi_u32 s55, s44, s51
	s_mul_i32 s54, s44, s51
	s_mul_hi_u32 s48, s44, s50
	s_mul_i32 s5, s45, s50
	s_add_nc_u64 s[48:49], s[48:49], s[54:55]
	s_mul_hi_u32 s2, s45, s50
	s_mul_hi_u32 s7, s45, s51
	s_add_co_u32 s5, s48, s5
	s_add_co_ci_u32 s52, s49, s2
	s_mul_i32 s50, s45, s51
	s_add_co_ci_u32 s51, s7, 0
	s_delay_alu instid0(SALU_CYCLE_1) | instskip(SKIP_3) | instid1(SALU_CYCLE_1)
	s_add_nc_u64 s[48:49], s[52:53], s[50:51]
	s_mov_b32 s51, s6
	s_add_co_u32 s44, s44, s48
	s_cselect_b32 s2, -1, 0
	s_cmp_lg_u32 s2, 0
	s_add_co_ci_u32 s45, s45, s49
	s_mov_b32 s49, s6
	s_mul_u64 s[46:47], s[46:47], s[44:45]
	s_delay_alu instid0(SALU_CYCLE_1)
	s_mul_hi_u32 s53, s44, s47
	s_mul_i32 s52, s44, s47
	s_mul_hi_u32 s50, s44, s46
	s_mul_i32 s5, s45, s46
	s_add_nc_u64 s[50:51], s[50:51], s[52:53]
	s_mul_hi_u32 s2, s45, s46
	s_mul_hi_u32 s7, s45, s47
	s_add_co_u32 s5, s50, s5
	s_add_co_ci_u32 s48, s51, s2
	s_mul_i32 s46, s45, s47
	s_add_co_ci_u32 s47, s7, 0
	s_delay_alu instid0(SALU_CYCLE_1) | instskip(NEXT) | instid1(SALU_CYCLE_1)
	s_add_nc_u64 s[46:47], s[48:49], s[46:47]
	s_add_co_u32 s2, s44, s46
	s_cselect_b32 s5, -1, 0
	v_mul_hi_u32 v32, v18, s2
	s_cmp_lg_u32 s5, 0
	s_add_co_ci_u32 s48, s45, s47
	s_and_b64 s[44:45], s[2:3], s[20:21]
	v_mul_u64_e32 v[20:21], s[48:49], v[18:19]
	v_mul_u64_e32 v[14:15], s[44:45], v[22:23]
	;; [unrolled: 1-line block ×3, first 2 shown]
	s_delay_alu instid0(VALU_DEP_3) | instskip(NEXT) | instid1(VALU_DEP_1)
	v_add_nc_u64_e32 v[20:21], v[32:33], v[20:21]
	v_add_co_u32 v11, vcc_lo, v20, v14
	s_delay_alu instid0(VALU_DEP_2) | instskip(NEXT) | instid1(VALU_DEP_4)
	v_add_co_ci_u32_e32 v32, vcc_lo, v21, v15, vcc_lo
	v_add_co_ci_u32_e32 v31, vcc_lo, 0, v31, vcc_lo
	s_delay_alu instid0(VALU_DEP_1) | instskip(NEXT) | instid1(VALU_DEP_1)
	v_add_nc_u64_e32 v[14:15], v[32:33], v[30:31]
	v_mul_u64_e32 v[20:21], s[36:37], v[14:15]
	s_delay_alu instid0(VALU_DEP_1) | instskip(NEXT) | instid1(VALU_DEP_2)
	v_sub_nc_u32_e32 v11, v22, v21
	v_sub_co_u32 v17, vcc_lo, v18, v20
	s_delay_alu instid0(VALU_DEP_1) | instskip(NEXT) | instid1(VALU_DEP_3)
	v_sub_co_ci_u32_e64 v22, null, v22, v21, vcc_lo
	v_subrev_co_ci_u32_e64 v11, null, s37, v11, vcc_lo
	s_delay_alu instid0(VALU_DEP_3) | instskip(SKIP_1) | instid1(VALU_DEP_3)
	v_sub_co_u32 v18, s2, v17, s36
	v_add_nc_u64_e32 v[20:21], 1, v[14:15]
	v_subrev_co_ci_u32_e64 v11, null, 0, v11, s2
	s_delay_alu instid0(VALU_DEP_3) | instskip(SKIP_1) | instid1(VALU_DEP_3)
	v_cmp_le_u32_e32 vcc_lo, s36, v18
	v_cndmask_b32_e64 v18, 0, -1, vcc_lo
	v_cmp_le_u32_e32 vcc_lo, s37, v11
	v_cndmask_b32_e64 v19, 0, -1, vcc_lo
	;; [unrolled: 2-line block ×4, first 2 shown]
	v_cmp_eq_u32_e32 vcc_lo, s37, v11
	v_cndmask_b32_e32 v11, v19, v18, vcc_lo
	v_cmp_eq_u32_e32 vcc_lo, s37, v22
	v_add_nc_u64_e32 v[18:19], 2, v[14:15]
	v_cndmask_b32_e32 v17, v23, v17, vcc_lo
	s_delay_alu instid0(VALU_DEP_4) | instskip(NEXT) | instid1(VALU_DEP_3)
	v_cmp_ne_u32_e32 vcc_lo, 0, v11
	v_cndmask_b32_e32 v11, v21, v19, vcc_lo
	s_delay_alu instid0(VALU_DEP_3) | instskip(SKIP_1) | instid1(VALU_DEP_1)
	v_cmp_ne_u32_e64 s2, 0, v17
	v_dual_cndmask_b32 v17, v20, v18, vcc_lo :: v_dual_bitop2_b32 v16, s4, v16 bitop3:0x14
	v_dual_cndmask_b32 v11, v15, v11, s2 :: v_dual_cndmask_b32 v14, v14, v17, s2
	s_delay_alu instid0(VALU_DEP_1) | instskip(NEXT) | instid1(VALU_DEP_2)
	v_dual_mov_b32 v17, v16 :: v_dual_bitop2_b32 v15, v11, v16 bitop3:0x14
	v_xor_b32_e32 v14, v14, v16
	s_delay_alu instid0(VALU_DEP_1)
	v_sub_nc_u64_e32 v[20:21], v[14:15], v[16:17]
                                        ; implicit-def: $vgpr16
                                        ; implicit-def: $vgpr14_vgpr15
.LBB0_29:                               ;   in Loop: Header=BB0_19 Depth=2
	s_and_not1_saveexec_b32 s2, s3
	s_cbranch_execz .LBB0_31
; %bb.30:                               ;   in Loop: Header=BB0_19 Depth=2
	v_rcp_iflag_f32_e32 v11, v16
	s_sub_co_i32 s3, 0, s16
	v_nop
	s_delay_alu instid0(TRANS32_DEP_1) | instskip(NEXT) | instid1(VALU_DEP_1)
	v_mul_f32_e32 v11, 0x4f7ffffe, v11
	v_cvt_u32_f32_e32 v11, v11
	s_delay_alu instid0(VALU_DEP_1) | instskip(NEXT) | instid1(VALU_DEP_1)
	v_mul_lo_u32 v15, s3, v11
	v_mul_hi_u32 v15, v11, v15
	s_delay_alu instid0(VALU_DEP_1) | instskip(NEXT) | instid1(VALU_DEP_1)
	v_add_nc_u32_e32 v11, v11, v15
	v_mul_hi_u32 v11, v14, v11
	s_delay_alu instid0(VALU_DEP_1) | instskip(NEXT) | instid1(VALU_DEP_1)
	v_mul_lo_u32 v15, v11, s16
	v_sub_nc_u32_e32 v14, v14, v15
	v_add_nc_u32_e32 v15, 1, v11
	s_delay_alu instid0(VALU_DEP_2) | instskip(SKIP_1) | instid1(VALU_DEP_2)
	v_subrev_nc_u32_e32 v16, s16, v14
	v_cmp_le_u32_e32 vcc_lo, s16, v14
	v_dual_cndmask_b32 v14, v14, v16 :: v_dual_cndmask_b32 v11, v11, v15
	s_delay_alu instid0(VALU_DEP_1) | instskip(NEXT) | instid1(VALU_DEP_2)
	v_cmp_le_u32_e32 vcc_lo, s16, v14
	v_add_nc_u32_e32 v15, 1, v11
	s_delay_alu instid0(VALU_DEP_1)
	v_cndmask_b32_e32 v20, v11, v15, vcc_lo
.LBB0_31:                               ;   in Loop: Header=BB0_19 Depth=2
	s_or_b32 exec_lo, exec_lo, s2
	v_mad_nc_u64_u32 v[22:23], v10, s18, v[12:13]
	v_mov_b64_e32 v[16:17], 0xfff0000000000000
	s_delay_alu instid0(VALU_DEP_2)
	v_add_nc_u32_e32 v14, v3, v22
	s_and_saveexec_b32 s5, s1
	s_cbranch_execz .LBB0_18
; %bb.32:                               ;   in Loop: Header=BB0_19 Depth=2
	v_mad_nc_u64_u32 v[18:19], s30, v22, v[4:5]
	v_dual_ashrrev_i32 v13, 31, v22 :: v_dual_sub_nc_u32 v15, v20, v22
	v_add_nc_u32_e32 v10, v28, v10
	v_mov_b64_e32 v[16:17], 0xfff0000000000000
	s_mov_b32 s7, 0
	s_mov_b32 s36, 0
	s_delay_alu instid0(VALU_DEP_4) | instskip(NEXT) | instid1(VALU_DEP_1)
	v_mad_u32 v11, s31, v22, v19
	v_mad_u32 v19, s30, v13, v11
	v_add_nc_u32_e32 v13, 1, v15
	v_mad_u32 v12, s9, v10, v12
	s_delay_alu instid0(VALU_DEP_2)
	v_cmp_lt_i32_e32 vcc_lo, 0, v13
	s_branch .LBB0_34
.LBB0_33:                               ;   in Loop: Header=BB0_34 Depth=3
	s_or_b32 exec_lo, exec_lo, s37
	s_add_co_i32 s36, s36, 1
	s_delay_alu instid0(VALU_DEP_4) | instskip(SKIP_1) | instid1(VALU_DEP_3)
	v_add_nc_u64_e32 v[18:19], s[26:27], v[18:19]
	v_cmp_ge_i32_e64 s2, s36, v27
	v_add_nc_u32_e32 v12, s9, v12
	s_or_b32 s7, s2, s7
	s_delay_alu instid0(SALU_CYCLE_1)
	s_and_not1_b32 exec_lo, exec_lo, s7
	s_cbranch_execz .LBB0_17
.LBB0_34:                               ;   Parent Loop BB0_3 Depth=1
                                        ;     Parent Loop BB0_19 Depth=2
                                        ; =>    This Loop Header: Depth=3
                                        ;         Child Loop BB0_36 Depth 4
	s_and_saveexec_b32 s37, vcc_lo
	s_cbranch_execz .LBB0_33
; %bb.35:                               ;   in Loop: Header=BB0_34 Depth=3
	s_delay_alu instid0(VALU_DEP_4)
	v_mov_b64_e32 v[10:11], v[18:19]
	s_mov_b32 s43, 0
	s_mov_b32 s44, 0
.LBB0_36:                               ;   Parent Loop BB0_3 Depth=1
                                        ;     Parent Loop BB0_19 Depth=2
                                        ;       Parent Loop BB0_34 Depth=3
                                        ; =>      This Inner Loop Header: Depth=4
	global_load_b64 v[20:21], v[10:11], off
	s_wait_xcnt 0x0
	v_add_nc_u64_e32 v[10:11], s[30:31], v[10:11]
	s_wait_loadcnt 0x0
	v_cmp_gt_f64_e64 s2, v[20:21], v[16:17]
	v_cmp_u_f64_e64 s3, v[20:21], v[20:21]
	s_or_b32 s2, s2, s3
	s_delay_alu instid0(SALU_CYCLE_1) | instskip(SKIP_3) | instid1(VALU_DEP_3)
	v_dual_add_nc_u32 v15, s44, v12 :: v_dual_cndmask_b32 v17, v17, v21, s2
	s_add_co_i32 s44, s44, 1
	v_cndmask_b32_e64 v16, v16, v20, s2
	v_cmp_ge_i32_e64 s4, s44, v13
	v_cndmask_b32_e64 v14, v14, v15, s2
	s_or_b32 s43, s4, s43
	s_delay_alu instid0(SALU_CYCLE_1)
	s_and_not1_b32 exec_lo, exec_lo, s43
	s_cbranch_execnz .LBB0_36
; %bb.37:                               ;   in Loop: Header=BB0_34 Depth=3
	s_or_b32 exec_lo, exec_lo, s43
	s_branch .LBB0_33
.LBB0_38:
	s_endpgm
	.section	.rodata,"a",@progbits
	.p2align	6, 0x0
	.amdhsa_kernel _ZN2at6native12_GLOBAL__N_115adaptivemaxpoolIdEEvPKT_PS3_Pliiiilll
		.amdhsa_group_segment_fixed_size 0
		.amdhsa_private_segment_fixed_size 0
		.amdhsa_kernarg_size 320
		.amdhsa_user_sgpr_count 2
		.amdhsa_user_sgpr_dispatch_ptr 0
		.amdhsa_user_sgpr_queue_ptr 0
		.amdhsa_user_sgpr_kernarg_segment_ptr 1
		.amdhsa_user_sgpr_dispatch_id 0
		.amdhsa_user_sgpr_kernarg_preload_length 0
		.amdhsa_user_sgpr_kernarg_preload_offset 0
		.amdhsa_user_sgpr_private_segment_size 0
		.amdhsa_wavefront_size32 1
		.amdhsa_uses_dynamic_stack 0
		.amdhsa_enable_private_segment 0
		.amdhsa_system_sgpr_workgroup_id_x 1
		.amdhsa_system_sgpr_workgroup_id_y 1
		.amdhsa_system_sgpr_workgroup_id_z 0
		.amdhsa_system_sgpr_workgroup_info 0
		.amdhsa_system_vgpr_workitem_id 1
		.amdhsa_next_free_vgpr 34
		.amdhsa_next_free_sgpr 56
		.amdhsa_named_barrier_count 0
		.amdhsa_reserve_vcc 1
		.amdhsa_float_round_mode_32 0
		.amdhsa_float_round_mode_16_64 0
		.amdhsa_float_denorm_mode_32 3
		.amdhsa_float_denorm_mode_16_64 3
		.amdhsa_fp16_overflow 0
		.amdhsa_memory_ordered 1
		.amdhsa_forward_progress 1
		.amdhsa_inst_pref_size 39
		.amdhsa_round_robin_scheduling 0
		.amdhsa_exception_fp_ieee_invalid_op 0
		.amdhsa_exception_fp_denorm_src 0
		.amdhsa_exception_fp_ieee_div_zero 0
		.amdhsa_exception_fp_ieee_overflow 0
		.amdhsa_exception_fp_ieee_underflow 0
		.amdhsa_exception_fp_ieee_inexact 0
		.amdhsa_exception_int_div_zero 0
	.end_amdhsa_kernel
	.section	.text._ZN2at6native12_GLOBAL__N_115adaptivemaxpoolIdEEvPKT_PS3_Pliiiilll,"axG",@progbits,_ZN2at6native12_GLOBAL__N_115adaptivemaxpoolIdEEvPKT_PS3_Pliiiilll,comdat
.Lfunc_end0:
	.size	_ZN2at6native12_GLOBAL__N_115adaptivemaxpoolIdEEvPKT_PS3_Pliiiilll, .Lfunc_end0-_ZN2at6native12_GLOBAL__N_115adaptivemaxpoolIdEEvPKT_PS3_Pliiiilll
                                        ; -- End function
	.set _ZN2at6native12_GLOBAL__N_115adaptivemaxpoolIdEEvPKT_PS3_Pliiiilll.num_vgpr, 34
	.set _ZN2at6native12_GLOBAL__N_115adaptivemaxpoolIdEEvPKT_PS3_Pliiiilll.num_agpr, 0
	.set _ZN2at6native12_GLOBAL__N_115adaptivemaxpoolIdEEvPKT_PS3_Pliiiilll.numbered_sgpr, 56
	.set _ZN2at6native12_GLOBAL__N_115adaptivemaxpoolIdEEvPKT_PS3_Pliiiilll.num_named_barrier, 0
	.set _ZN2at6native12_GLOBAL__N_115adaptivemaxpoolIdEEvPKT_PS3_Pliiiilll.private_seg_size, 0
	.set _ZN2at6native12_GLOBAL__N_115adaptivemaxpoolIdEEvPKT_PS3_Pliiiilll.uses_vcc, 1
	.set _ZN2at6native12_GLOBAL__N_115adaptivemaxpoolIdEEvPKT_PS3_Pliiiilll.uses_flat_scratch, 0
	.set _ZN2at6native12_GLOBAL__N_115adaptivemaxpoolIdEEvPKT_PS3_Pliiiilll.has_dyn_sized_stack, 0
	.set _ZN2at6native12_GLOBAL__N_115adaptivemaxpoolIdEEvPKT_PS3_Pliiiilll.has_recursion, 0
	.set _ZN2at6native12_GLOBAL__N_115adaptivemaxpoolIdEEvPKT_PS3_Pliiiilll.has_indirect_call, 0
	.section	.AMDGPU.csdata,"",@progbits
; Kernel info:
; codeLenInByte = 4968
; TotalNumSgprs: 58
; NumVgprs: 34
; ScratchSize: 0
; MemoryBound: 0
; FloatMode: 240
; IeeeMode: 1
; LDSByteSize: 0 bytes/workgroup (compile time only)
; SGPRBlocks: 0
; VGPRBlocks: 2
; NumSGPRsForWavesPerEU: 58
; NumVGPRsForWavesPerEU: 34
; NamedBarCnt: 0
; Occupancy: 16
; WaveLimiterHint : 0
; COMPUTE_PGM_RSRC2:SCRATCH_EN: 0
; COMPUTE_PGM_RSRC2:USER_SGPR: 2
; COMPUTE_PGM_RSRC2:TRAP_HANDLER: 0
; COMPUTE_PGM_RSRC2:TGID_X_EN: 1
; COMPUTE_PGM_RSRC2:TGID_Y_EN: 1
; COMPUTE_PGM_RSRC2:TGID_Z_EN: 0
; COMPUTE_PGM_RSRC2:TIDIG_COMP_CNT: 1
	.section	.text._ZN2at6native12_GLOBAL__N_115adaptivemaxpoolIfEEvPKT_PS3_Pliiiilll,"axG",@progbits,_ZN2at6native12_GLOBAL__N_115adaptivemaxpoolIfEEvPKT_PS3_Pliiiilll,comdat
	.globl	_ZN2at6native12_GLOBAL__N_115adaptivemaxpoolIfEEvPKT_PS3_Pliiiilll ; -- Begin function _ZN2at6native12_GLOBAL__N_115adaptivemaxpoolIfEEvPKT_PS3_Pliiiilll
	.p2align	8
	.type	_ZN2at6native12_GLOBAL__N_115adaptivemaxpoolIfEEvPKT_PS3_Pliiiilll,@function
_ZN2at6native12_GLOBAL__N_115adaptivemaxpoolIfEEvPKT_PS3_Pliiiilll: ; @_ZN2at6native12_GLOBAL__N_115adaptivemaxpoolIfEEvPKT_PS3_Pliiiilll
; %bb.0:
	s_clause 0x1
	s_load_b32 s3, s[0:1], 0x4c
	s_load_b128 s[8:11], s[0:1], 0x18
	s_bfe_u32 s2, ttmp6, 0x40010
	s_bfe_u32 s5, ttmp6, 0x40004
	s_add_co_i32 s2, s2, 1
	s_getreg_b32 s4, hwreg(HW_REG_IB_STS2, 6, 4)
	s_mul_i32 s2, ttmp7, s2
	v_bfe_u32 v1, v0, 10, 10
	s_add_co_i32 s5, s5, s2
	s_mov_b32 s6, 0
	s_wait_kmcnt 0x0
	s_lshr_b32 s2, s3, 16
	s_cmp_eq_u32 s4, 0
	s_cselect_b32 s5, ttmp7, s5
	s_delay_alu instid0(SALU_CYCLE_1) | instskip(SKIP_1) | instid1(VALU_DEP_1)
	v_mad_u32 v2, s5, s2, v1
	s_mov_b32 s5, exec_lo
	v_cmpx_gt_i32_e64 s10, v2
	s_cbranch_execz .LBB1_38
; %bb.1:
	s_bfe_u32 s5, ttmp6, 0x4000c
	s_and_b32 s7, ttmp6, 15
	s_add_co_i32 s5, s5, 1
	s_and_b32 s33, s3, 0xffff
	s_mul_i32 s5, ttmp9, s5
	s_mov_b32 s12, s10
	s_add_co_i32 s7, s7, s5
	s_cmp_eq_u32 s4, 0
	v_cvt_f32_u32_e32 v1, s12
	s_cselect_b32 s4, ttmp9, s7
	s_ashr_i32 s38, s10, 31
	v_and_b32_e32 v22, 0x3ff, v0
	s_add_co_i32 s3, s10, s38
	v_rcp_iflag_f32_e32 v1, v1
	s_xor_b32 s39, s3, s38
	s_add_nc_u64 s[22:23], s[0:1], 64
	v_cvt_f32_u32_e32 v3, s39
	s_clause 0x3
	s_load_b128 s[28:31], s[0:1], 0x0
	s_load_b64 s[24:25], s[0:1], 0x10
	s_load_b128 s[40:43], s[0:1], 0x28
	s_load_b64 s[34:35], s[0:1], 0x38
	s_wait_xcnt 0x0
	s_sub_co_i32 s0, 0, s39
	s_sub_co_i32 s3, 0, s10
	v_rcp_iflag_f32_e32 v3, v3
	s_load_b32 s1, s[22:23], 0x4
	s_ashr_i32 s5, s4, 31
	s_ashr_i32 s13, s10, 31
	s_mov_b32 s14, s8
	s_mov_b32 s16, s11
	;; [unrolled: 1-line block ×3, first 2 shown]
	v_nop
	v_dual_mul_f32 v0, 0x4f7ffffe, v3 :: v_dual_mul_f32 v3, 0x4f7ffffe, v1
	s_mov_b64 s[20:21], 0xffffffff
	s_ashr_i32 s15, s8, 31
	s_ashr_i32 s17, s11, 31
	s_delay_alu instid0(VALU_DEP_1) | instskip(SKIP_2) | instid1(VALU_DEP_2)
	v_cvt_u32_f32_e32 v0, v0
	v_cvt_u32_f32_e32 v3, v3
	s_ashr_i32 s19, s9, 31
	v_mul_lo_u32 v4, s0, v0
	s_delay_alu instid0(VALU_DEP_2)
	v_mul_lo_u32 v5, s3, v3
	s_mul_i32 s3, s10, s4
	s_wait_kmcnt 0x0
	s_mul_u64 s[4:5], s[40:41], s[4:5]
	s_mul_i32 s22, s3, s11
	v_cmp_gt_i32_e64 s0, s11, v22
	s_ashr_i32 s23, s22, 31
	s_lshl_b64 s[4:5], s[4:5], 2
	s_lshl_b64 s[26:27], s[22:23], 2
	;; [unrolled: 1-line block ×3, first 2 shown]
	s_add_nc_u64 s[22:23], s[30:31], s[26:27]
	v_mul_hi_u32 v4, v0, v4
	v_mul_hi_u32 v5, v3, v5
	v_mov_b32_e32 v1, 0
	s_add_nc_u64 s[24:25], s[24:25], s[36:37]
	s_lshl_b64 s[26:27], s[42:43], 2
	s_mul_i32 s40, s1, s2
	s_add_nc_u64 s[28:29], s[28:29], s[4:5]
	s_lshl_b64 s[30:31], s[34:35], 2
	s_ashr_i32 s34, s13, 31
	s_mov_b32 s41, 0
	s_delay_alu instid0(VALU_DEP_2)
	v_dual_add_nc_u32 v23, v0, v4 :: v_dual_add_nc_u32 v24, v3, v5
	s_branch .LBB1_3
.LBB1_2:                                ;   in Loop: Header=BB1_3 Depth=1
	s_or_b32 exec_lo, exec_lo, s35
	v_add_nc_u32_e32 v2, s40, v2
	s_delay_alu instid0(VALU_DEP_1) | instskip(SKIP_1) | instid1(SALU_CYCLE_1)
	v_cmp_le_i32_e32 vcc_lo, s10, v2
	s_or_b32 s41, vcc_lo, s41
	s_and_not1_b32 exec_lo, exec_lo, s41
	s_cbranch_execz .LBB1_38
.LBB1_3:                                ; =>This Loop Header: Depth=1
                                        ;     Child Loop BB1_19 Depth 2
                                        ;       Child Loop BB1_34 Depth 3
                                        ;         Child Loop BB1_36 Depth 4
	v_dual_mov_b32 v4, v1 :: v_dual_ashrrev_i32 v3, 31, v2
	s_mov_b32 s1, exec_lo
                                        ; implicit-def: $vgpr6_vgpr7
	s_delay_alu instid0(VALU_DEP_1) | instskip(NEXT) | instid1(VALU_DEP_1)
	v_or_b32_e32 v5, s13, v3
	v_cmpx_ne_u64_e32 0, v[4:5]
	s_xor_b32 s1, exec_lo, s1
	s_cbranch_execz .LBB1_5
; %bb.4:                                ;   in Loop: Header=BB1_3 Depth=1
	v_ashrrev_i32_e32 v0, 31, v2
	s_delay_alu instid0(VALU_DEP_1) | instskip(NEXT) | instid1(VALU_DEP_1)
	v_add_nc_u32_e32 v4, v2, v0
	v_xor_b32_e32 v4, v4, v0
	s_delay_alu instid0(VALU_DEP_1) | instskip(NEXT) | instid1(VALU_DEP_1)
	v_mul_hi_u32 v5, v4, v23
	v_mul_lo_u32 v6, v5, s39
	s_delay_alu instid0(VALU_DEP_1) | instskip(SKIP_1) | instid1(VALU_DEP_2)
	v_dual_sub_nc_u32 v4, v4, v6 :: v_dual_add_nc_u32 v6, 1, v5
	v_xor_b32_e32 v0, s38, v0
	v_subrev_nc_u32_e32 v7, s39, v4
	v_cmp_le_u32_e32 vcc_lo, s39, v4
	s_delay_alu instid0(VALU_DEP_2) | instskip(NEXT) | instid1(VALU_DEP_1)
	v_dual_cndmask_b32 v4, v4, v7 :: v_dual_cndmask_b32 v5, v5, v6
	v_cmp_le_u32_e32 vcc_lo, s39, v4
	s_delay_alu instid0(VALU_DEP_2) | instskip(NEXT) | instid1(VALU_DEP_1)
	v_add_nc_u32_e32 v6, 1, v5
	v_cndmask_b32_e32 v4, v5, v6, vcc_lo
	s_delay_alu instid0(VALU_DEP_1) | instskip(NEXT) | instid1(VALU_DEP_1)
	v_xor_b32_e32 v4, v4, v0
	v_sub_nc_u32_e32 v6, v4, v0
	s_delay_alu instid0(VALU_DEP_1)
	v_ashrrev_i32_e32 v7, 31, v6
.LBB1_5:                                ;   in Loop: Header=BB1_3 Depth=1
	s_and_not1_saveexec_b32 s1, s1
	s_cbranch_execz .LBB1_7
; %bb.6:                                ;   in Loop: Header=BB1_3 Depth=1
	v_mul_hi_u32 v0, v2, v24
	s_delay_alu instid0(VALU_DEP_1) | instskip(SKIP_1) | instid1(VALU_DEP_2)
	v_mul_lo_u32 v4, v0, s12
	v_add_nc_u32_e32 v5, 1, v0
	v_sub_nc_u32_e32 v4, v2, v4
	s_delay_alu instid0(VALU_DEP_1) | instskip(NEXT) | instid1(VALU_DEP_3)
	v_cmp_le_u32_e32 vcc_lo, s12, v4
	v_cndmask_b32_e32 v0, v0, v5, vcc_lo
	v_subrev_nc_u32_e32 v6, s12, v4
	s_delay_alu instid0(VALU_DEP_1) | instskip(NEXT) | instid1(VALU_DEP_1)
	v_dual_cndmask_b32 v4, v4, v6 :: v_dual_add_nc_u32 v5, 1, v0
	v_cmp_le_u32_e32 vcc_lo, s12, v4
	s_delay_alu instid0(VALU_DEP_2) | instskip(NEXT) | instid1(VALU_DEP_1)
	v_cndmask_b32_e32 v0, v0, v5, vcc_lo
	v_mov_b64_e32 v[6:7], v[0:1]
.LBB1_7:                                ;   in Loop: Header=BB1_3 Depth=1
	s_or_b32 exec_lo, exec_lo, s1
	s_delay_alu instid0(VALU_DEP_1) | instskip(SKIP_1) | instid1(VALU_DEP_2)
	v_mul_u64_e32 v[4:5], s[12:13], v[6:7]
	v_mov_b32_e32 v8, v1
	v_sub_nc_u64_e32 v[4:5], v[2:3], v[4:5]
	s_delay_alu instid0(VALU_DEP_1) | instskip(NEXT) | instid1(VALU_DEP_1)
	v_mul_u64_e32 v[4:5], s[14:15], v[4:5]
	v_or_b32_e32 v9, s13, v5
	s_delay_alu instid0(VALU_DEP_1) | instskip(SKIP_1) | instid1(SALU_CYCLE_1)
	v_cmp_ne_u64_e32 vcc_lo, 0, v[8:9]
                                        ; implicit-def: $vgpr8_vgpr9
	s_and_saveexec_b32 s1, vcc_lo
	s_xor_b32 s4, exec_lo, s1
	s_cbranch_execz .LBB1_9
; %bb.8:                                ;   in Loop: Header=BB1_3 Depth=1
	s_mov_b32 s35, s34
	s_mov_b32 s45, s6
	s_add_nc_u64 s[2:3], s[12:13], s[34:35]
	s_mov_b32 s49, s6
	s_xor_b64 s[2:3], s[2:3], s[34:35]
	v_dual_mov_b32 v13, v1 :: v_dual_ashrrev_i32 v8, 31, v5
	s_cvt_f32_u32 s1, s2
	s_cvt_f32_u32 s5, s3
	s_sub_nc_u64 s[42:43], 0, s[2:3]
	s_delay_alu instid0(VALU_DEP_1) | instskip(NEXT) | instid1(SALU_CYCLE_1)
	v_dual_mov_b32 v9, v8 :: v_dual_mov_b32 v17, v1
	s_fmamk_f32 s1, s5, 0x4f800000, s1
	s_delay_alu instid0(VALU_DEP_1) | instskip(NEXT) | instid1(SALU_CYCLE_2)
	v_add_nc_u64_e32 v[4:5], v[4:5], v[8:9]
	v_s_rcp_f32 s1, s1
	s_delay_alu instid0(VALU_DEP_1) | instskip(NEXT) | instid1(VALU_DEP_2)
	v_xor_b32_e32 v0, v4, v8
	v_xor_b32_e32 v12, v5, v8
	s_delay_alu instid0(TRANS32_DEP_1) | instskip(SKIP_1) | instid1(SALU_CYCLE_2)
	s_mul_f32 s1, s1, 0x5f7ffffc
	v_xor_b32_e32 v8, s34, v8
	s_mul_f32 s5, s1, 0x2f800000
	s_delay_alu instid0(SALU_CYCLE_3) | instskip(NEXT) | instid1(SALU_CYCLE_3)
	s_trunc_f32 s5, s5
	s_fmamk_f32 s1, s5, 0xcf800000, s1
	s_cvt_u32_f32 s37, s5
	s_delay_alu instid0(SALU_CYCLE_2) | instskip(NEXT) | instid1(SALU_CYCLE_3)
	s_cvt_u32_f32 s36, s1
	s_mul_u64 s[46:47], s[42:43], s[36:37]
	s_delay_alu instid0(SALU_CYCLE_1)
	s_mul_hi_u32 s51, s36, s47
	s_mul_i32 s50, s36, s47
	s_mul_hi_u32 s44, s36, s46
	s_mul_i32 s5, s37, s46
	s_add_nc_u64 s[44:45], s[44:45], s[50:51]
	s_mul_hi_u32 s1, s37, s46
	s_mul_hi_u32 s7, s37, s47
	s_add_co_u32 s5, s44, s5
	s_add_co_ci_u32 s48, s45, s1
	s_mul_i32 s46, s37, s47
	s_add_co_ci_u32 s47, s7, 0
	s_delay_alu instid0(SALU_CYCLE_1) | instskip(SKIP_3) | instid1(SALU_CYCLE_1)
	s_add_nc_u64 s[44:45], s[48:49], s[46:47]
	s_mov_b32 s47, s6
	s_add_co_u32 s36, s36, s44
	s_cselect_b32 s1, -1, 0
	s_cmp_lg_u32 s1, 0
	s_add_co_ci_u32 s37, s37, s45
	s_mov_b32 s45, s6
	s_mul_u64 s[42:43], s[42:43], s[36:37]
	s_delay_alu instid0(SALU_CYCLE_1)
	s_mul_hi_u32 s49, s36, s43
	s_mul_i32 s48, s36, s43
	s_mul_hi_u32 s46, s36, s42
	s_mul_i32 s5, s37, s42
	s_add_nc_u64 s[46:47], s[46:47], s[48:49]
	s_mul_hi_u32 s1, s37, s42
	s_mul_hi_u32 s7, s37, s43
	s_add_co_u32 s5, s46, s5
	s_add_co_ci_u32 s44, s47, s1
	s_mul_i32 s42, s37, s43
	s_add_co_ci_u32 s43, s7, 0
	s_delay_alu instid0(SALU_CYCLE_1) | instskip(NEXT) | instid1(SALU_CYCLE_1)
	s_add_nc_u64 s[42:43], s[44:45], s[42:43]
	s_add_co_u32 s36, s36, s42
	s_cselect_b32 s1, -1, 0
	v_mul_hi_u32 v16, v0, s36
	s_cmp_lg_u32 s1, 0
	s_add_co_ci_u32 s44, s37, s43
	s_and_b64 s[42:43], s[36:37], s[20:21]
	v_mul_u64_e32 v[10:11], s[44:45], v[0:1]
	v_mul_u64_e32 v[4:5], s[42:43], v[12:13]
	;; [unrolled: 1-line block ×3, first 2 shown]
	s_delay_alu instid0(VALU_DEP_3) | instskip(NEXT) | instid1(VALU_DEP_1)
	v_add_nc_u64_e32 v[10:11], v[16:17], v[10:11]
	v_add_co_u32 v4, vcc_lo, v10, v4
	s_delay_alu instid0(VALU_DEP_2) | instskip(NEXT) | instid1(VALU_DEP_4)
	v_add_co_ci_u32_e32 v16, vcc_lo, v11, v5, vcc_lo
	v_add_co_ci_u32_e32 v15, vcc_lo, 0, v15, vcc_lo
	s_delay_alu instid0(VALU_DEP_1) | instskip(NEXT) | instid1(VALU_DEP_1)
	v_add_nc_u64_e32 v[4:5], v[16:17], v[14:15]
	v_mul_u64_e32 v[10:11], s[2:3], v[4:5]
	s_delay_alu instid0(VALU_DEP_1) | instskip(NEXT) | instid1(VALU_DEP_2)
	v_sub_nc_u32_e32 v7, v12, v11
	v_sub_co_u32 v0, vcc_lo, v0, v10
	s_delay_alu instid0(VALU_DEP_1) | instskip(NEXT) | instid1(VALU_DEP_3)
	v_sub_co_ci_u32_e64 v14, null, v12, v11, vcc_lo
	v_subrev_co_ci_u32_e64 v7, null, s3, v7, vcc_lo
	s_delay_alu instid0(VALU_DEP_3) | instskip(SKIP_1) | instid1(VALU_DEP_3)
	v_sub_co_u32 v9, s1, v0, s2
	v_add_nc_u64_e32 v[12:13], 1, v[4:5]
	v_subrev_co_ci_u32_e64 v7, null, 0, v7, s1
	s_delay_alu instid0(VALU_DEP_3) | instskip(SKIP_1) | instid1(VALU_DEP_3)
	v_cmp_le_u32_e32 vcc_lo, s2, v9
	v_cndmask_b32_e64 v9, 0, -1, vcc_lo
	v_cmp_le_u32_e32 vcc_lo, s3, v7
	v_cndmask_b32_e64 v10, 0, -1, vcc_lo
	;; [unrolled: 2-line block ×4, first 2 shown]
	v_cmp_eq_u32_e32 vcc_lo, s3, v7
	v_cndmask_b32_e32 v7, v10, v9, vcc_lo
	v_cmp_eq_u32_e32 vcc_lo, s3, v14
	v_add_nc_u64_e32 v[10:11], 2, v[4:5]
	v_cndmask_b32_e32 v0, v15, v0, vcc_lo
	s_delay_alu instid0(VALU_DEP_4) | instskip(NEXT) | instid1(VALU_DEP_2)
	v_cmp_ne_u32_e32 vcc_lo, 0, v7
	v_cmp_ne_u32_e64 s1, 0, v0
	s_delay_alu instid0(VALU_DEP_4) | instskip(NEXT) | instid1(VALU_DEP_1)
	v_dual_cndmask_b32 v7, v13, v11 :: v_dual_cndmask_b32 v0, v12, v10
	v_dual_cndmask_b32 v5, v5, v7, s1 :: v_dual_cndmask_b32 v0, v4, v0, s1
	s_delay_alu instid0(VALU_DEP_1) | instskip(NEXT) | instid1(VALU_DEP_2)
	v_dual_mov_b32 v9, v8 :: v_dual_bitop2_b32 v5, v5, v8 bitop3:0x14
	v_xor_b32_e32 v4, v0, v8
	s_delay_alu instid0(VALU_DEP_1)
	v_sub_nc_u64_e32 v[8:9], v[4:5], v[8:9]
                                        ; implicit-def: $vgpr4_vgpr5
.LBB1_9:                                ;   in Loop: Header=BB1_3 Depth=1
	s_and_not1_saveexec_b32 s1, s4
	s_cbranch_execz .LBB1_11
; %bb.10:                               ;   in Loop: Header=BB1_3 Depth=1
	s_delay_alu instid0(VALU_DEP_3) | instskip(NEXT) | instid1(VALU_DEP_1)
	v_mul_hi_u32 v0, v4, v24
	v_mul_lo_u32 v5, v0, s12
	s_delay_alu instid0(VALU_DEP_1) | instskip(NEXT) | instid1(VALU_DEP_1)
	v_dual_sub_nc_u32 v4, v4, v5 :: v_dual_add_nc_u32 v5, 1, v0
	v_subrev_nc_u32_e32 v7, s12, v4
	v_cmp_le_u32_e32 vcc_lo, s12, v4
	s_delay_alu instid0(VALU_DEP_3) | instskip(NEXT) | instid1(VALU_DEP_1)
	v_cndmask_b32_e32 v0, v0, v5, vcc_lo
	v_dual_cndmask_b32 v4, v4, v7 :: v_dual_add_nc_u32 v5, 1, v0
	s_delay_alu instid0(VALU_DEP_1) | instskip(NEXT) | instid1(VALU_DEP_2)
	v_cmp_le_u32_e32 vcc_lo, s12, v4
	v_cndmask_b32_e32 v0, v0, v5, vcc_lo
	s_delay_alu instid0(VALU_DEP_1)
	v_mov_b64_e32 v[8:9], v[0:1]
.LBB1_11:                               ;   in Loop: Header=BB1_3 Depth=1
	s_or_b32 exec_lo, exec_lo, s1
	v_add_nc_u64_e32 v[10:11], 1, v[2:3]
	s_delay_alu instid0(VALU_DEP_1) | instskip(NEXT) | instid1(VALU_DEP_1)
	v_mad_nc_u64_u32 v[4:5], v10, s14, -1
	v_mad_u32 v0, v11, s14, v5
	s_delay_alu instid0(VALU_DEP_1) | instskip(NEXT) | instid1(VALU_DEP_1)
	v_mad_u32 v5, v10, s15, v0
	v_dual_mov_b32 v10, v1 :: v_dual_bitop2_b32 v11, s13, v5 bitop3:0x54
	s_delay_alu instid0(VALU_DEP_1) | instskip(SKIP_1) | instid1(SALU_CYCLE_1)
	v_cmp_ne_u64_e32 vcc_lo, 0, v[10:11]
                                        ; implicit-def: $vgpr10_vgpr11
	s_and_saveexec_b32 s1, vcc_lo
	s_xor_b32 s4, exec_lo, s1
	s_cbranch_execnz .LBB1_14
; %bb.12:                               ;   in Loop: Header=BB1_3 Depth=1
	s_and_not1_saveexec_b32 s1, s4
	s_cbranch_execnz .LBB1_15
.LBB1_13:                               ;   in Loop: Header=BB1_3 Depth=1
	s_or_b32 exec_lo, exec_lo, s1
	s_and_saveexec_b32 s35, s0
	s_cbranch_execz .LBB1_2
	s_branch .LBB1_16
.LBB1_14:                               ;   in Loop: Header=BB1_3 Depth=1
	s_mov_b32 s35, s34
	s_mov_b32 s45, s6
	s_add_nc_u64 s[2:3], s[12:13], s[34:35]
	s_mov_b32 s49, s6
	s_xor_b64 s[2:3], s[2:3], s[34:35]
	v_dual_mov_b32 v15, v1 :: v_dual_ashrrev_i32 v10, 31, v5
	s_cvt_f32_u32 s1, s2
	s_cvt_f32_u32 s5, s3
	s_sub_nc_u64 s[42:43], 0, s[2:3]
	s_delay_alu instid0(VALU_DEP_1) | instskip(NEXT) | instid1(SALU_CYCLE_1)
	v_mov_b32_e32 v11, v10
	s_fmamk_f32 s1, s5, 0x4f800000, s1
	s_delay_alu instid0(VALU_DEP_1) | instskip(NEXT) | instid1(SALU_CYCLE_2)
	v_add_nc_u64_e32 v[4:5], v[4:5], v[10:11]
	v_s_rcp_f32 s1, s1
	s_delay_alu instid0(VALU_DEP_1) | instskip(NEXT) | instid1(VALU_DEP_2)
	v_xor_b32_e32 v0, v4, v10
	v_xor_b32_e32 v14, v5, v10
	s_delay_alu instid0(TRANS32_DEP_1) | instskip(SKIP_1) | instid1(SALU_CYCLE_2)
	s_mul_f32 s1, s1, 0x5f7ffffc
	v_dual_mov_b32 v19, v1 :: v_dual_bitop2_b32 v10, s34, v10 bitop3:0x14
	s_mul_f32 s5, s1, 0x2f800000
	s_delay_alu instid0(SALU_CYCLE_3) | instskip(NEXT) | instid1(SALU_CYCLE_3)
	s_trunc_f32 s5, s5
	s_fmamk_f32 s1, s5, 0xcf800000, s1
	s_cvt_u32_f32 s37, s5
	s_delay_alu instid0(SALU_CYCLE_2) | instskip(NEXT) | instid1(SALU_CYCLE_3)
	s_cvt_u32_f32 s36, s1
	s_mul_u64 s[46:47], s[42:43], s[36:37]
	s_delay_alu instid0(SALU_CYCLE_1)
	s_mul_hi_u32 s51, s36, s47
	s_mul_i32 s50, s36, s47
	s_mul_hi_u32 s44, s36, s46
	s_mul_i32 s5, s37, s46
	s_add_nc_u64 s[44:45], s[44:45], s[50:51]
	s_mul_hi_u32 s1, s37, s46
	s_mul_hi_u32 s7, s37, s47
	s_add_co_u32 s5, s44, s5
	s_add_co_ci_u32 s48, s45, s1
	s_mul_i32 s46, s37, s47
	s_add_co_ci_u32 s47, s7, 0
	s_delay_alu instid0(SALU_CYCLE_1) | instskip(SKIP_3) | instid1(SALU_CYCLE_1)
	s_add_nc_u64 s[44:45], s[48:49], s[46:47]
	s_mov_b32 s47, s6
	s_add_co_u32 s36, s36, s44
	s_cselect_b32 s1, -1, 0
	s_cmp_lg_u32 s1, 0
	s_add_co_ci_u32 s37, s37, s45
	s_mov_b32 s45, s6
	s_mul_u64 s[42:43], s[42:43], s[36:37]
	s_delay_alu instid0(SALU_CYCLE_1)
	s_mul_hi_u32 s49, s36, s43
	s_mul_i32 s48, s36, s43
	s_mul_hi_u32 s46, s36, s42
	s_mul_i32 s5, s37, s42
	s_add_nc_u64 s[46:47], s[46:47], s[48:49]
	s_mul_hi_u32 s1, s37, s42
	s_mul_hi_u32 s7, s37, s43
	s_add_co_u32 s5, s46, s5
	s_add_co_ci_u32 s44, s47, s1
	s_mul_i32 s42, s37, s43
	s_add_co_ci_u32 s43, s7, 0
	s_delay_alu instid0(SALU_CYCLE_1) | instskip(NEXT) | instid1(SALU_CYCLE_1)
	s_add_nc_u64 s[42:43], s[44:45], s[42:43]
	s_add_co_u32 s36, s36, s42
	s_cselect_b32 s1, -1, 0
	v_mul_hi_u32 v18, v0, s36
	s_cmp_lg_u32 s1, 0
	s_add_co_ci_u32 s44, s37, s43
	s_and_b64 s[42:43], s[36:37], s[20:21]
	v_mul_u64_e32 v[12:13], s[44:45], v[0:1]
	v_mul_u64_e32 v[4:5], s[42:43], v[14:15]
	;; [unrolled: 1-line block ×3, first 2 shown]
	s_delay_alu instid0(VALU_DEP_3) | instskip(NEXT) | instid1(VALU_DEP_1)
	v_add_nc_u64_e32 v[12:13], v[18:19], v[12:13]
	v_add_co_u32 v3, vcc_lo, v12, v4
	s_delay_alu instid0(VALU_DEP_2) | instskip(NEXT) | instid1(VALU_DEP_4)
	v_add_co_ci_u32_e32 v18, vcc_lo, v13, v5, vcc_lo
	v_add_co_ci_u32_e32 v17, vcc_lo, 0, v17, vcc_lo
	s_delay_alu instid0(VALU_DEP_1) | instskip(NEXT) | instid1(VALU_DEP_1)
	v_add_nc_u64_e32 v[4:5], v[18:19], v[16:17]
	v_mul_u64_e32 v[12:13], s[2:3], v[4:5]
	s_delay_alu instid0(VALU_DEP_1) | instskip(NEXT) | instid1(VALU_DEP_2)
	v_sub_nc_u32_e32 v3, v14, v13
	v_sub_co_u32 v0, vcc_lo, v0, v12
	s_delay_alu instid0(VALU_DEP_1) | instskip(NEXT) | instid1(VALU_DEP_3)
	v_sub_co_ci_u32_e64 v11, null, v14, v13, vcc_lo
	v_subrev_co_ci_u32_e64 v3, null, s3, v3, vcc_lo
	s_delay_alu instid0(VALU_DEP_3) | instskip(SKIP_1) | instid1(VALU_DEP_3)
	v_sub_co_u32 v7, s1, v0, s2
	v_add_nc_u64_e32 v[14:15], 1, v[4:5]
	v_subrev_co_ci_u32_e64 v3, null, 0, v3, s1
	s_delay_alu instid0(VALU_DEP_3) | instskip(SKIP_1) | instid1(VALU_DEP_3)
	v_cmp_le_u32_e32 vcc_lo, s2, v7
	v_cndmask_b32_e64 v7, 0, -1, vcc_lo
	v_cmp_le_u32_e32 vcc_lo, s3, v3
	v_cndmask_b32_e64 v12, 0, -1, vcc_lo
	;; [unrolled: 2-line block ×4, first 2 shown]
	v_cmp_eq_u32_e32 vcc_lo, s3, v3
	v_cndmask_b32_e32 v3, v12, v7, vcc_lo
	v_cmp_eq_u32_e32 vcc_lo, s3, v11
	v_add_nc_u64_e32 v[12:13], 2, v[4:5]
	v_cndmask_b32_e32 v0, v16, v0, vcc_lo
	s_delay_alu instid0(VALU_DEP_4) | instskip(NEXT) | instid1(VALU_DEP_3)
	v_cmp_ne_u32_e32 vcc_lo, 0, v3
	v_cndmask_b32_e32 v3, v15, v13, vcc_lo
	s_delay_alu instid0(VALU_DEP_3) | instskip(NEXT) | instid1(VALU_DEP_1)
	v_cmp_ne_u32_e64 s1, 0, v0
	v_dual_cndmask_b32 v0, v14, v12, vcc_lo :: v_dual_cndmask_b32 v3, v5, v3, s1
	s_delay_alu instid0(VALU_DEP_1) | instskip(NEXT) | instid1(VALU_DEP_2)
	v_dual_cndmask_b32 v0, v4, v0, s1 :: v_dual_mov_b32 v11, v10
	v_xor_b32_e32 v5, v3, v10
	s_delay_alu instid0(VALU_DEP_2) | instskip(NEXT) | instid1(VALU_DEP_1)
	v_xor_b32_e32 v4, v0, v10
	v_sub_nc_u64_e32 v[10:11], v[4:5], v[10:11]
                                        ; implicit-def: $vgpr4_vgpr5
	s_and_not1_saveexec_b32 s1, s4
	s_cbranch_execz .LBB1_13
.LBB1_15:                               ;   in Loop: Header=BB1_3 Depth=1
	v_mul_hi_u32 v0, v4, v24
	s_delay_alu instid0(VALU_DEP_1) | instskip(NEXT) | instid1(VALU_DEP_1)
	v_mul_lo_u32 v3, v0, s12
	v_dual_sub_nc_u32 v3, v4, v3 :: v_dual_add_nc_u32 v4, 1, v0
	s_delay_alu instid0(VALU_DEP_1) | instskip(SKIP_1) | instid1(VALU_DEP_2)
	v_subrev_nc_u32_e32 v5, s12, v3
	v_cmp_le_u32_e32 vcc_lo, s12, v3
	v_dual_cndmask_b32 v3, v3, v5 :: v_dual_cndmask_b32 v0, v0, v4
	s_delay_alu instid0(VALU_DEP_1) | instskip(NEXT) | instid1(VALU_DEP_2)
	v_cmp_le_u32_e32 vcc_lo, s12, v3
	v_add_nc_u32_e32 v4, 1, v0
	s_delay_alu instid0(VALU_DEP_1)
	v_cndmask_b32_e32 v10, v0, v4, vcc_lo
	s_or_b32 exec_lo, exec_lo, s1
	s_and_saveexec_b32 s35, s0
	s_cbranch_execz .LBB1_2
.LBB1_16:                               ;   in Loop: Header=BB1_3 Depth=1
	v_mad_nc_u64_u32 v[12:13], v6, s14, v[8:9]
	v_mul_lo_u32 v14, v2, s11
	v_mad_u32 v26, s8, v6, v8
	s_mov_b32 s42, 0
	s_delay_alu instid0(VALU_DEP_3) | instskip(SKIP_2) | instid1(VALU_DEP_3)
	v_mad_nc_u64_u32 v[4:5], s26, v12, s[28:29]
	v_mul_lo_u32 v3, s9, v12
	v_ashrrev_i32_e32 v7, 31, v12
	v_mad_u32 v0, s27, v12, v5
	v_dual_sub_nc_u32 v5, v10, v12 :: v_dual_ashrrev_i32 v15, 31, v14
	s_delay_alu instid0(VALU_DEP_1) | instskip(NEXT) | instid1(VALU_DEP_2)
	v_add_nc_u32_e32 v25, 1, v5
	v_lshl_add_u64 v[8:9], v[14:15], 3, s[24:25]
	s_delay_alu instid0(VALU_DEP_2)
	v_cmp_lt_i32_e64 s1, 0, v25
	v_mad_u32 v5, s26, v7, v0
	v_lshl_add_u64 v[6:7], v[14:15], 2, s[22:23]
	v_mov_b32_e32 v0, v22
	s_branch .LBB1_19
.LBB1_17:                               ;   in Loop: Header=BB1_19 Depth=2
	s_or_b32 exec_lo, exec_lo, s7
.LBB1_18:                               ;   in Loop: Header=BB1_19 Depth=2
	s_delay_alu instid0(SALU_CYCLE_1)
	s_or_b32 exec_lo, exec_lo, s5
	v_lshl_add_u64 v[10:11], v[0:1], 2, v[6:7]
	v_lshl_add_u64 v[16:17], v[0:1], 3, v[8:9]
	v_dual_add_nc_u32 v0, s33, v0 :: v_dual_ashrrev_i32 v15, 31, v14
	global_store_b32 v[10:11], v13, off
	global_store_b64 v[16:17], v[14:15], off
	v_cmp_le_i32_e32 vcc_lo, s11, v0
	s_or_b32 s42, vcc_lo, s42
	s_wait_xcnt 0x0
	s_and_not1_b32 exec_lo, exec_lo, s42
	s_cbranch_execz .LBB1_2
.LBB1_19:                               ;   Parent Loop BB1_3 Depth=1
                                        ; =>  This Loop Header: Depth=2
                                        ;       Child Loop BB1_34 Depth 3
                                        ;         Child Loop BB1_36 Depth 4
	s_mov_b32 s7, s17
                                        ; implicit-def: $vgpr10_vgpr11
	s_delay_alu instid0(SALU_CYCLE_1) | instskip(SKIP_1) | instid1(SALU_CYCLE_1)
	s_cmp_lg_u64 s[6:7], 0
	s_cselect_b32 s2, -1, 0
	s_and_saveexec_b32 s3, s2
	s_delay_alu instid0(SALU_CYCLE_1)
	s_xor_b32 s3, exec_lo, s3
	s_cbranch_execz .LBB1_21
; %bb.20:                               ;   in Loop: Header=BB1_19 Depth=2
	s_ashr_i32 s4, s17, 31
	s_mov_b32 s49, s6
	s_mov_b32 s5, s4
	;; [unrolled: 1-line block ×3, first 2 shown]
	s_add_nc_u64 s[36:37], s[16:17], s[4:5]
	v_add_nc_u64_e32 v[10:11], 0, v[0:1]
	s_xor_b64 s[36:37], s[36:37], s[4:5]
	v_mov_b32_e32 v13, v1
	s_cvt_f32_u32 s2, s36
	s_cvt_f32_u32 s5, s37
	s_sub_nc_u64 s[46:47], 0, s[36:37]
	s_delay_alu instid0(VALU_DEP_2) | instskip(NEXT) | instid1(SALU_CYCLE_1)
	v_dual_mov_b32 v15, v1 :: v_dual_mov_b32 v14, v11
	s_fmamk_f32 s2, s5, 0x4f800000, s2
	v_dual_mov_b32 v12, v10 :: v_dual_mov_b32 v19, v1
	s_delay_alu instid0(SALU_CYCLE_2) | instskip(NEXT) | instid1(TRANS32_DEP_1)
	v_s_rcp_f32 s2, s2
	s_mul_f32 s2, s2, 0x5f7ffffc
	s_delay_alu instid0(SALU_CYCLE_3) | instskip(NEXT) | instid1(SALU_CYCLE_3)
	s_mul_f32 s5, s2, 0x2f800000
	s_trunc_f32 s5, s5
	s_delay_alu instid0(SALU_CYCLE_3) | instskip(SKIP_1) | instid1(SALU_CYCLE_2)
	s_fmamk_f32 s2, s5, 0xcf800000, s2
	s_cvt_u32_f32 s45, s5
	s_cvt_u32_f32 s44, s2
	s_delay_alu instid0(SALU_CYCLE_3) | instskip(NEXT) | instid1(SALU_CYCLE_1)
	s_mul_u64 s[50:51], s[46:47], s[44:45]
	s_mul_hi_u32 s55, s44, s51
	s_mul_i32 s54, s44, s51
	s_mul_hi_u32 s48, s44, s50
	s_mul_i32 s5, s45, s50
	s_add_nc_u64 s[48:49], s[48:49], s[54:55]
	s_mul_hi_u32 s2, s45, s50
	s_mul_hi_u32 s7, s45, s51
	s_add_co_u32 s5, s48, s5
	s_add_co_ci_u32 s52, s49, s2
	s_mul_i32 s50, s45, s51
	s_add_co_ci_u32 s51, s7, 0
	s_delay_alu instid0(SALU_CYCLE_1) | instskip(SKIP_3) | instid1(SALU_CYCLE_1)
	s_add_nc_u64 s[48:49], s[52:53], s[50:51]
	s_mov_b32 s51, s6
	s_add_co_u32 s44, s44, s48
	s_cselect_b32 s2, -1, 0
	s_cmp_lg_u32 s2, 0
	s_add_co_ci_u32 s45, s45, s49
	s_mov_b32 s49, s6
	s_mul_u64 s[46:47], s[46:47], s[44:45]
	s_delay_alu instid0(SALU_CYCLE_1)
	s_mul_hi_u32 s53, s44, s47
	s_mul_i32 s52, s44, s47
	s_mul_hi_u32 s50, s44, s46
	s_mul_i32 s5, s45, s46
	s_add_nc_u64 s[50:51], s[50:51], s[52:53]
	s_mul_hi_u32 s2, s45, s46
	s_mul_hi_u32 s7, s45, s47
	s_add_co_u32 s5, s50, s5
	s_add_co_ci_u32 s48, s51, s2
	s_mul_i32 s46, s45, s47
	s_add_co_ci_u32 s47, s7, 0
	s_delay_alu instid0(SALU_CYCLE_1) | instskip(NEXT) | instid1(SALU_CYCLE_1)
	s_add_nc_u64 s[46:47], s[48:49], s[46:47]
	s_add_co_u32 s2, s44, s46
	s_cselect_b32 s5, -1, 0
	v_nop
	v_mul_hi_u32 v18, v10, s2
	s_cmp_lg_u32 s5, 0
	s_add_co_ci_u32 s48, s45, s47
	s_and_b64 s[44:45], s[2:3], s[20:21]
	v_mul_u64_e32 v[12:13], s[48:49], v[12:13]
	v_mul_u64_e32 v[16:17], s[44:45], v[14:15]
	v_mul_u64_e32 v[14:15], s[48:49], v[14:15]
	s_delay_alu instid0(VALU_DEP_3) | instskip(NEXT) | instid1(VALU_DEP_1)
	v_add_nc_u64_e32 v[12:13], v[18:19], v[12:13]
	v_add_co_u32 v12, vcc_lo, v12, v16
	s_delay_alu instid0(VALU_DEP_2) | instskip(NEXT) | instid1(VALU_DEP_4)
	v_add_co_ci_u32_e32 v18, vcc_lo, v13, v17, vcc_lo
	v_add_co_ci_u32_e32 v15, vcc_lo, 0, v15, vcc_lo
	s_delay_alu instid0(VALU_DEP_1) | instskip(NEXT) | instid1(VALU_DEP_1)
	v_add_nc_u64_e32 v[12:13], v[18:19], v[14:15]
	v_mul_u64_e32 v[14:15], s[36:37], v[12:13]
	s_delay_alu instid0(VALU_DEP_1) | instskip(NEXT) | instid1(VALU_DEP_2)
	v_sub_nc_u32_e32 v16, v11, v15
	v_sub_co_u32 v10, vcc_lo, v10, v14
	s_delay_alu instid0(VALU_DEP_1) | instskip(NEXT) | instid1(VALU_DEP_3)
	v_sub_co_ci_u32_e64 v15, null, v11, v15, vcc_lo
	v_subrev_co_ci_u32_e64 v14, null, s37, v16, vcc_lo
	s_delay_alu instid0(VALU_DEP_3) | instskip(SKIP_1) | instid1(VALU_DEP_3)
	v_sub_co_u32 v18, s2, v10, s36
	v_cmp_le_u32_e32 vcc_lo, s36, v10
	v_subrev_co_ci_u32_e64 v14, null, 0, v14, s2
	s_delay_alu instid0(VALU_DEP_3) | instskip(SKIP_2) | instid1(VALU_DEP_4)
	v_cmp_le_u32_e64 s2, s36, v18
	v_add_nc_u64_e32 v[16:17], 2, v[12:13]
	v_cndmask_b32_e64 v20, 0, -1, vcc_lo
	v_cmp_eq_u32_e32 vcc_lo, s37, v14
	v_add_nc_u64_e32 v[10:11], 1, v[12:13]
	v_cndmask_b32_e64 v18, 0, -1, s2
	v_cmp_le_u32_e64 s2, s37, v14
	s_delay_alu instid0(VALU_DEP_1) | instskip(SKIP_1) | instid1(VALU_DEP_2)
	v_cndmask_b32_e64 v19, 0, -1, s2
	v_cmp_eq_u32_e64 s2, s37, v15
	v_cndmask_b32_e32 v14, v19, v18, vcc_lo
	v_cmp_le_u32_e32 vcc_lo, s37, v15
	v_cndmask_b32_e64 v18, 0, -1, vcc_lo
	s_delay_alu instid0(VALU_DEP_3) | instskip(NEXT) | instid1(VALU_DEP_2)
	v_cmp_ne_u32_e32 vcc_lo, 0, v14
	v_dual_cndmask_b32 v14, v18, v20, s2 :: v_dual_cndmask_b32 v11, v11, v17, vcc_lo
	v_cndmask_b32_e32 v10, v10, v16, vcc_lo
	s_delay_alu instid0(VALU_DEP_2) | instskip(NEXT) | instid1(VALU_DEP_2)
	v_cmp_ne_u32_e32 vcc_lo, 0, v14
	v_dual_cndmask_b32 v13, v13, v11 :: v_dual_cndmask_b32 v12, v12, v10
	v_dual_mov_b32 v11, s4 :: v_dual_mov_b32 v10, s4
	s_delay_alu instid0(VALU_DEP_2) | instskip(NEXT) | instid1(VALU_DEP_3)
	v_xor_b32_e32 v13, s4, v13
	v_xor_b32_e32 v12, s4, v12
	s_delay_alu instid0(VALU_DEP_1)
	v_sub_nc_u64_e32 v[10:11], v[12:13], v[10:11]
.LBB1_21:                               ;   in Loop: Header=BB1_19 Depth=2
	s_or_saveexec_b32 s2, s3
	v_cvt_f32_u32_e32 v16, s16
	s_xor_b32 exec_lo, exec_lo, s2
	s_cbranch_execz .LBB1_23
; %bb.22:                               ;   in Loop: Header=BB1_19 Depth=2
	s_delay_alu instid0(VALU_DEP_1) | instskip(SKIP_2) | instid1(TRANS32_DEP_1)
	v_rcp_iflag_f32_e32 v10, v16
	s_sub_co_i32 s3, 0, s16
	v_nop
	v_mul_f32_e32 v10, 0x4f7ffffe, v10
	s_delay_alu instid0(VALU_DEP_1) | instskip(NEXT) | instid1(VALU_DEP_1)
	v_cvt_u32_f32_e32 v10, v10
	v_mul_lo_u32 v11, s3, v10
	s_delay_alu instid0(VALU_DEP_1) | instskip(NEXT) | instid1(VALU_DEP_1)
	v_mul_hi_u32 v11, v10, v11
	v_add_nc_u32_e32 v10, v10, v11
	s_delay_alu instid0(VALU_DEP_1) | instskip(NEXT) | instid1(VALU_DEP_1)
	v_mul_hi_u32 v10, v0, v10
	v_mul_lo_u32 v11, v10, s16
	s_delay_alu instid0(VALU_DEP_1) | instskip(NEXT) | instid1(VALU_DEP_1)
	v_dual_add_nc_u32 v12, 1, v10 :: v_dual_sub_nc_u32 v11, v0, v11
	v_subrev_nc_u32_e32 v13, s16, v11
	v_cmp_le_u32_e32 vcc_lo, s16, v11
	s_delay_alu instid0(VALU_DEP_2) | instskip(NEXT) | instid1(VALU_DEP_1)
	v_dual_cndmask_b32 v11, v11, v13 :: v_dual_cndmask_b32 v10, v10, v12
	v_cmp_le_u32_e32 vcc_lo, s16, v11
	s_delay_alu instid0(VALU_DEP_2) | instskip(NEXT) | instid1(VALU_DEP_1)
	v_dual_mov_b32 v11, v1 :: v_dual_add_nc_u32 v12, 1, v10
	v_cndmask_b32_e32 v10, v10, v12, vcc_lo
.LBB1_23:                               ;   in Loop: Header=BB1_19 Depth=2
	s_or_b32 exec_lo, exec_lo, s2
	s_delay_alu instid0(VALU_DEP_1) | instskip(NEXT) | instid1(VALU_DEP_1)
	v_mul_u64_e32 v[12:13], s[16:17], v[10:11]
	v_sub_nc_u64_e32 v[12:13], v[0:1], v[12:13]
	s_delay_alu instid0(VALU_DEP_1) | instskip(NEXT) | instid1(VALU_DEP_1)
	v_mul_u64_e32 v[14:15], s[18:19], v[12:13]
	v_dual_mov_b32 v12, v1 :: v_dual_bitop2_b32 v13, s17, v15 bitop3:0x54
	s_delay_alu instid0(VALU_DEP_1) | instskip(SKIP_1) | instid1(SALU_CYCLE_1)
	v_cmp_ne_u64_e32 vcc_lo, 0, v[12:13]
                                        ; implicit-def: $vgpr12_vgpr13
	s_and_saveexec_b32 s2, vcc_lo
	s_xor_b32 s3, exec_lo, s2
	s_cbranch_execz .LBB1_25
; %bb.24:                               ;   in Loop: Header=BB1_19 Depth=2
	s_ashr_i32 s4, s17, 31
	s_mov_b32 s49, s6
	s_mov_b32 s5, s4
	;; [unrolled: 1-line block ×3, first 2 shown]
	s_add_nc_u64 s[36:37], s[16:17], s[4:5]
	v_dual_mov_b32 v19, v1 :: v_dual_ashrrev_i32 v12, 31, v15
	s_xor_b64 s[36:37], s[36:37], s[4:5]
	s_delay_alu instid0(SALU_CYCLE_1) | instskip(SKIP_3) | instid1(SALU_CYCLE_1)
	s_cvt_f32_u32 s2, s36
	s_cvt_f32_u32 s5, s37
	s_sub_nc_u64 s[46:47], 0, s[36:37]
	v_mov_b32_e32 v13, v12
	s_fmamk_f32 s2, s5, 0x4f800000, s2
	s_delay_alu instid0(VALU_DEP_1) | instskip(NEXT) | instid1(SALU_CYCLE_2)
	v_add_nc_u64_e32 v[14:15], v[14:15], v[12:13]
	v_s_rcp_f32 s2, s2
	s_delay_alu instid0(VALU_DEP_1) | instskip(NEXT) | instid1(VALU_DEP_2)
	v_dual_mov_b32 v29, v1 :: v_dual_bitop2_b32 v28, v15, v12 bitop3:0x14
	v_xor_b32_e32 v18, v14, v12
	s_delay_alu instid0(TRANS32_DEP_1) | instskip(SKIP_1) | instid1(SALU_CYCLE_2)
	s_mul_f32 s2, s2, 0x5f7ffffc
	v_mov_b32_e32 v33, v1
	s_mul_f32 s5, s2, 0x2f800000
	s_delay_alu instid0(SALU_CYCLE_3) | instskip(NEXT) | instid1(SALU_CYCLE_3)
	s_trunc_f32 s5, s5
	s_fmamk_f32 s2, s5, 0xcf800000, s2
	s_cvt_u32_f32 s45, s5
	s_delay_alu instid0(SALU_CYCLE_2) | instskip(NEXT) | instid1(SALU_CYCLE_3)
	s_cvt_u32_f32 s44, s2
	s_mul_u64 s[50:51], s[46:47], s[44:45]
	s_delay_alu instid0(SALU_CYCLE_1)
	s_mul_hi_u32 s55, s44, s51
	s_mul_i32 s54, s44, s51
	s_mul_hi_u32 s48, s44, s50
	s_mul_i32 s5, s45, s50
	s_add_nc_u64 s[48:49], s[48:49], s[54:55]
	s_mul_hi_u32 s2, s45, s50
	s_mul_hi_u32 s7, s45, s51
	s_add_co_u32 s5, s48, s5
	s_add_co_ci_u32 s52, s49, s2
	s_mul_i32 s50, s45, s51
	s_add_co_ci_u32 s51, s7, 0
	s_delay_alu instid0(SALU_CYCLE_1) | instskip(SKIP_3) | instid1(SALU_CYCLE_1)
	s_add_nc_u64 s[48:49], s[52:53], s[50:51]
	s_mov_b32 s51, s6
	s_add_co_u32 s44, s44, s48
	s_cselect_b32 s2, -1, 0
	s_cmp_lg_u32 s2, 0
	s_add_co_ci_u32 s45, s45, s49
	s_mov_b32 s49, s6
	s_mul_u64 s[46:47], s[46:47], s[44:45]
	s_delay_alu instid0(SALU_CYCLE_1)
	s_mul_hi_u32 s53, s44, s47
	s_mul_i32 s52, s44, s47
	s_mul_hi_u32 s50, s44, s46
	s_mul_i32 s5, s45, s46
	s_add_nc_u64 s[50:51], s[50:51], s[52:53]
	s_mul_hi_u32 s2, s45, s46
	s_mul_hi_u32 s7, s45, s47
	s_add_co_u32 s5, s50, s5
	s_add_co_ci_u32 s48, s51, s2
	s_mul_i32 s46, s45, s47
	s_add_co_ci_u32 s47, s7, 0
	s_delay_alu instid0(SALU_CYCLE_1) | instskip(NEXT) | instid1(SALU_CYCLE_1)
	s_add_nc_u64 s[46:47], s[48:49], s[46:47]
	s_add_co_u32 s2, s44, s46
	s_cselect_b32 s5, -1, 0
	v_mul_hi_u32 v32, v18, s2
	s_cmp_lg_u32 s5, 0
	s_add_co_ci_u32 s48, s45, s47
	s_and_b64 s[44:45], s[2:3], s[20:21]
	v_mul_u64_e32 v[20:21], s[48:49], v[18:19]
	v_mul_u64_e32 v[14:15], s[44:45], v[28:29]
	;; [unrolled: 1-line block ×3, first 2 shown]
	s_delay_alu instid0(VALU_DEP_3) | instskip(NEXT) | instid1(VALU_DEP_1)
	v_add_nc_u64_e32 v[20:21], v[32:33], v[20:21]
	v_add_co_u32 v11, vcc_lo, v20, v14
	s_delay_alu instid0(VALU_DEP_2) | instskip(NEXT) | instid1(VALU_DEP_4)
	v_add_co_ci_u32_e32 v32, vcc_lo, v21, v15, vcc_lo
	v_add_co_ci_u32_e32 v31, vcc_lo, 0, v31, vcc_lo
	s_delay_alu instid0(VALU_DEP_1) | instskip(NEXT) | instid1(VALU_DEP_1)
	v_add_nc_u64_e32 v[14:15], v[32:33], v[30:31]
	v_mul_u64_e32 v[20:21], s[36:37], v[14:15]
	s_delay_alu instid0(VALU_DEP_1) | instskip(NEXT) | instid1(VALU_DEP_2)
	v_sub_nc_u32_e32 v11, v28, v21
	v_sub_co_u32 v13, vcc_lo, v18, v20
	s_delay_alu instid0(VALU_DEP_1) | instskip(NEXT) | instid1(VALU_DEP_3)
	v_sub_co_ci_u32_e64 v27, null, v28, v21, vcc_lo
	v_subrev_co_ci_u32_e64 v11, null, s37, v11, vcc_lo
	s_delay_alu instid0(VALU_DEP_3) | instskip(SKIP_1) | instid1(VALU_DEP_3)
	v_sub_co_u32 v17, s2, v13, s36
	v_add_nc_u64_e32 v[20:21], 1, v[14:15]
	v_subrev_co_ci_u32_e64 v11, null, 0, v11, s2
	s_delay_alu instid0(VALU_DEP_3) | instskip(SKIP_1) | instid1(VALU_DEP_3)
	v_cmp_le_u32_e32 vcc_lo, s36, v17
	v_cndmask_b32_e64 v17, 0, -1, vcc_lo
	v_cmp_le_u32_e32 vcc_lo, s37, v11
	v_cndmask_b32_e64 v18, 0, -1, vcc_lo
	;; [unrolled: 2-line block ×4, first 2 shown]
	v_cmp_eq_u32_e32 vcc_lo, s37, v11
	v_cndmask_b32_e32 v11, v18, v17, vcc_lo
	v_cmp_eq_u32_e32 vcc_lo, s37, v27
	v_add_nc_u64_e32 v[18:19], 2, v[14:15]
	v_cndmask_b32_e32 v13, v28, v13, vcc_lo
	s_delay_alu instid0(VALU_DEP_4) | instskip(NEXT) | instid1(VALU_DEP_3)
	v_cmp_ne_u32_e32 vcc_lo, 0, v11
	v_cndmask_b32_e32 v11, v21, v19, vcc_lo
	s_delay_alu instid0(VALU_DEP_3) | instskip(SKIP_1) | instid1(VALU_DEP_1)
	v_cmp_ne_u32_e64 s2, 0, v13
	v_dual_cndmask_b32 v13, v20, v18, vcc_lo :: v_dual_bitop2_b32 v12, s4, v12 bitop3:0x14
	v_dual_cndmask_b32 v11, v15, v11, s2 :: v_dual_cndmask_b32 v14, v14, v13, s2
	s_delay_alu instid0(VALU_DEP_1) | instskip(NEXT) | instid1(VALU_DEP_2)
	v_dual_mov_b32 v13, v12 :: v_dual_bitop2_b32 v15, v11, v12 bitop3:0x14
	v_xor_b32_e32 v14, v14, v12
	s_delay_alu instid0(VALU_DEP_1)
	v_sub_nc_u64_e32 v[12:13], v[14:15], v[12:13]
                                        ; implicit-def: $vgpr14_vgpr15
.LBB1_25:                               ;   in Loop: Header=BB1_19 Depth=2
	s_and_not1_saveexec_b32 s2, s3
	s_cbranch_execz .LBB1_27
; %bb.26:                               ;   in Loop: Header=BB1_19 Depth=2
	v_rcp_iflag_f32_e32 v11, v16
	s_sub_co_i32 s3, 0, s16
	v_nop
	s_delay_alu instid0(TRANS32_DEP_1) | instskip(NEXT) | instid1(VALU_DEP_1)
	v_mul_f32_e32 v11, 0x4f7ffffe, v11
	v_cvt_u32_f32_e32 v11, v11
	s_delay_alu instid0(VALU_DEP_1) | instskip(NEXT) | instid1(VALU_DEP_1)
	v_mul_lo_u32 v12, s3, v11
	v_mul_hi_u32 v12, v11, v12
	s_delay_alu instid0(VALU_DEP_1) | instskip(NEXT) | instid1(VALU_DEP_1)
	v_add_nc_u32_e32 v11, v11, v12
	v_mul_hi_u32 v11, v14, v11
	s_delay_alu instid0(VALU_DEP_1) | instskip(NEXT) | instid1(VALU_DEP_1)
	v_mul_lo_u32 v12, v11, s16
	v_dual_add_nc_u32 v13, 1, v11 :: v_dual_sub_nc_u32 v12, v14, v12
	s_delay_alu instid0(VALU_DEP_1) | instskip(SKIP_1) | instid1(VALU_DEP_2)
	v_subrev_nc_u32_e32 v14, s16, v12
	v_cmp_le_u32_e32 vcc_lo, s16, v12
	v_dual_cndmask_b32 v12, v12, v14 :: v_dual_cndmask_b32 v11, v11, v13
	s_delay_alu instid0(VALU_DEP_1) | instskip(NEXT) | instid1(VALU_DEP_2)
	v_cmp_le_u32_e32 vcc_lo, s16, v12
	v_add_nc_u32_e32 v13, 1, v11
	s_delay_alu instid0(VALU_DEP_1)
	v_dual_cndmask_b32 v12, v11, v13 :: v_dual_mov_b32 v13, v1
.LBB1_27:                               ;   in Loop: Header=BB1_19 Depth=2
	s_or_b32 exec_lo, exec_lo, s2
	v_dual_mov_b32 v18, v1 :: v_dual_add_nc_u32 v11, 1, v0
	s_delay_alu instid0(VALU_DEP_1) | instskip(NEXT) | instid1(VALU_DEP_1)
	v_mad_nc_u64_u32 v[14:15], v11, s18, -1
	v_mad_u32 v15, v11, s19, v15
	s_delay_alu instid0(VALU_DEP_1) | instskip(NEXT) | instid1(VALU_DEP_1)
	v_or_b32_e32 v19, s17, v15
	v_cmp_ne_u64_e32 vcc_lo, 0, v[18:19]
                                        ; implicit-def: $vgpr18_vgpr19
	s_and_saveexec_b32 s2, vcc_lo
	s_delay_alu instid0(SALU_CYCLE_1)
	s_xor_b32 s3, exec_lo, s2
	s_cbranch_execz .LBB1_29
; %bb.28:                               ;   in Loop: Header=BB1_19 Depth=2
	s_ashr_i32 s4, s17, 31
	s_mov_b32 s49, s6
	s_mov_b32 s5, s4
	;; [unrolled: 1-line block ×3, first 2 shown]
	s_add_nc_u64 s[36:37], s[16:17], s[4:5]
	v_dual_mov_b32 v19, v1 :: v_dual_ashrrev_i32 v16, 31, v15
	s_xor_b64 s[36:37], s[36:37], s[4:5]
	s_delay_alu instid0(SALU_CYCLE_1) | instskip(SKIP_3) | instid1(SALU_CYCLE_1)
	s_cvt_f32_u32 s2, s36
	s_cvt_f32_u32 s5, s37
	s_sub_nc_u64 s[46:47], 0, s[36:37]
	v_mov_b32_e32 v17, v16
	s_fmamk_f32 s2, s5, 0x4f800000, s2
	s_delay_alu instid0(VALU_DEP_1) | instskip(NEXT) | instid1(SALU_CYCLE_2)
	v_add_nc_u64_e32 v[14:15], v[14:15], v[16:17]
	v_s_rcp_f32 s2, s2
	s_delay_alu instid0(VALU_DEP_1) | instskip(NEXT) | instid1(VALU_DEP_2)
	v_dual_mov_b32 v29, v1 :: v_dual_bitop2_b32 v28, v15, v16 bitop3:0x14
	v_xor_b32_e32 v18, v14, v16
	s_delay_alu instid0(TRANS32_DEP_1) | instskip(SKIP_1) | instid1(SALU_CYCLE_2)
	s_mul_f32 s2, s2, 0x5f7ffffc
	v_mov_b32_e32 v33, v1
	s_mul_f32 s5, s2, 0x2f800000
	s_delay_alu instid0(SALU_CYCLE_3) | instskip(NEXT) | instid1(SALU_CYCLE_3)
	s_trunc_f32 s5, s5
	s_fmamk_f32 s2, s5, 0xcf800000, s2
	s_cvt_u32_f32 s45, s5
	s_delay_alu instid0(SALU_CYCLE_2) | instskip(NEXT) | instid1(SALU_CYCLE_3)
	s_cvt_u32_f32 s44, s2
	s_mul_u64 s[50:51], s[46:47], s[44:45]
	s_delay_alu instid0(SALU_CYCLE_1)
	s_mul_hi_u32 s55, s44, s51
	s_mul_i32 s54, s44, s51
	s_mul_hi_u32 s48, s44, s50
	s_mul_i32 s5, s45, s50
	s_add_nc_u64 s[48:49], s[48:49], s[54:55]
	s_mul_hi_u32 s2, s45, s50
	s_mul_hi_u32 s7, s45, s51
	s_add_co_u32 s5, s48, s5
	s_add_co_ci_u32 s52, s49, s2
	s_mul_i32 s50, s45, s51
	s_add_co_ci_u32 s51, s7, 0
	s_delay_alu instid0(SALU_CYCLE_1) | instskip(SKIP_3) | instid1(SALU_CYCLE_1)
	s_add_nc_u64 s[48:49], s[52:53], s[50:51]
	s_mov_b32 s51, s6
	s_add_co_u32 s44, s44, s48
	s_cselect_b32 s2, -1, 0
	s_cmp_lg_u32 s2, 0
	s_add_co_ci_u32 s45, s45, s49
	s_mov_b32 s49, s6
	s_mul_u64 s[46:47], s[46:47], s[44:45]
	s_delay_alu instid0(SALU_CYCLE_1)
	s_mul_hi_u32 s53, s44, s47
	s_mul_i32 s52, s44, s47
	s_mul_hi_u32 s50, s44, s46
	s_mul_i32 s5, s45, s46
	s_add_nc_u64 s[50:51], s[50:51], s[52:53]
	s_mul_hi_u32 s2, s45, s46
	s_mul_hi_u32 s7, s45, s47
	s_add_co_u32 s5, s50, s5
	s_add_co_ci_u32 s48, s51, s2
	s_mul_i32 s46, s45, s47
	s_add_co_ci_u32 s47, s7, 0
	s_delay_alu instid0(SALU_CYCLE_1) | instskip(NEXT) | instid1(SALU_CYCLE_1)
	s_add_nc_u64 s[46:47], s[48:49], s[46:47]
	s_add_co_u32 s2, s44, s46
	s_cselect_b32 s5, -1, 0
	v_mul_hi_u32 v32, v18, s2
	s_cmp_lg_u32 s5, 0
	s_add_co_ci_u32 s48, s45, s47
	s_and_b64 s[44:45], s[2:3], s[20:21]
	v_mul_u64_e32 v[20:21], s[48:49], v[18:19]
	v_mul_u64_e32 v[14:15], s[44:45], v[28:29]
	;; [unrolled: 1-line block ×3, first 2 shown]
	s_delay_alu instid0(VALU_DEP_3) | instskip(NEXT) | instid1(VALU_DEP_1)
	v_add_nc_u64_e32 v[20:21], v[32:33], v[20:21]
	v_add_co_u32 v11, vcc_lo, v20, v14
	s_delay_alu instid0(VALU_DEP_2) | instskip(NEXT) | instid1(VALU_DEP_4)
	v_add_co_ci_u32_e32 v32, vcc_lo, v21, v15, vcc_lo
	v_add_co_ci_u32_e32 v31, vcc_lo, 0, v31, vcc_lo
	s_delay_alu instid0(VALU_DEP_1) | instskip(NEXT) | instid1(VALU_DEP_1)
	v_add_nc_u64_e32 v[14:15], v[32:33], v[30:31]
	v_mul_u64_e32 v[20:21], s[36:37], v[14:15]
	s_delay_alu instid0(VALU_DEP_1) | instskip(NEXT) | instid1(VALU_DEP_2)
	v_sub_nc_u32_e32 v11, v28, v21
	v_sub_co_u32 v17, vcc_lo, v18, v20
	s_delay_alu instid0(VALU_DEP_1) | instskip(NEXT) | instid1(VALU_DEP_3)
	v_sub_co_ci_u32_e64 v27, null, v28, v21, vcc_lo
	v_subrev_co_ci_u32_e64 v11, null, s37, v11, vcc_lo
	s_delay_alu instid0(VALU_DEP_3) | instskip(SKIP_1) | instid1(VALU_DEP_3)
	v_sub_co_u32 v18, s2, v17, s36
	v_add_nc_u64_e32 v[20:21], 1, v[14:15]
	v_subrev_co_ci_u32_e64 v11, null, 0, v11, s2
	s_delay_alu instid0(VALU_DEP_3) | instskip(SKIP_1) | instid1(VALU_DEP_3)
	v_cmp_le_u32_e32 vcc_lo, s36, v18
	v_cndmask_b32_e64 v18, 0, -1, vcc_lo
	v_cmp_le_u32_e32 vcc_lo, s37, v11
	v_cndmask_b32_e64 v19, 0, -1, vcc_lo
	;; [unrolled: 2-line block ×4, first 2 shown]
	v_cmp_eq_u32_e32 vcc_lo, s37, v11
	v_cndmask_b32_e32 v11, v19, v18, vcc_lo
	v_cmp_eq_u32_e32 vcc_lo, s37, v27
	v_add_nc_u64_e32 v[18:19], 2, v[14:15]
	v_cndmask_b32_e32 v17, v28, v17, vcc_lo
	s_delay_alu instid0(VALU_DEP_4) | instskip(NEXT) | instid1(VALU_DEP_2)
	v_cmp_ne_u32_e32 vcc_lo, 0, v11
	v_cmp_ne_u32_e64 s2, 0, v17
	s_delay_alu instid0(VALU_DEP_4) | instskip(NEXT) | instid1(VALU_DEP_1)
	v_dual_cndmask_b32 v11, v21, v19, vcc_lo :: v_dual_cndmask_b32 v17, v20, v18, vcc_lo
	v_dual_cndmask_b32 v11, v15, v11, s2 :: v_dual_bitop2_b32 v16, s4, v16 bitop3:0x14
	s_delay_alu instid0(VALU_DEP_1) | instskip(NEXT) | instid1(VALU_DEP_2)
	v_dual_cndmask_b32 v14, v14, v17, s2 :: v_dual_mov_b32 v17, v16
	v_xor_b32_e32 v15, v11, v16
	s_delay_alu instid0(VALU_DEP_2) | instskip(NEXT) | instid1(VALU_DEP_1)
	v_xor_b32_e32 v14, v14, v16
	v_sub_nc_u64_e32 v[18:19], v[14:15], v[16:17]
                                        ; implicit-def: $vgpr16
                                        ; implicit-def: $vgpr14_vgpr15
.LBB1_29:                               ;   in Loop: Header=BB1_19 Depth=2
	s_and_not1_saveexec_b32 s2, s3
	s_cbranch_execz .LBB1_31
; %bb.30:                               ;   in Loop: Header=BB1_19 Depth=2
	v_rcp_iflag_f32_e32 v11, v16
	s_sub_co_i32 s3, 0, s16
	v_nop
	s_delay_alu instid0(TRANS32_DEP_1) | instskip(NEXT) | instid1(VALU_DEP_1)
	v_mul_f32_e32 v11, 0x4f7ffffe, v11
	v_cvt_u32_f32_e32 v11, v11
	s_delay_alu instid0(VALU_DEP_1) | instskip(NEXT) | instid1(VALU_DEP_1)
	v_mul_lo_u32 v15, s3, v11
	v_mul_hi_u32 v15, v11, v15
	s_delay_alu instid0(VALU_DEP_1) | instskip(NEXT) | instid1(VALU_DEP_1)
	v_add_nc_u32_e32 v11, v11, v15
	v_mul_hi_u32 v11, v14, v11
	s_delay_alu instid0(VALU_DEP_1) | instskip(NEXT) | instid1(VALU_DEP_1)
	v_mul_lo_u32 v15, v11, s16
	v_sub_nc_u32_e32 v14, v14, v15
	v_add_nc_u32_e32 v15, 1, v11
	s_delay_alu instid0(VALU_DEP_2) | instskip(SKIP_1) | instid1(VALU_DEP_2)
	v_subrev_nc_u32_e32 v16, s16, v14
	v_cmp_le_u32_e32 vcc_lo, s16, v14
	v_dual_cndmask_b32 v14, v14, v16 :: v_dual_cndmask_b32 v11, v11, v15
	s_delay_alu instid0(VALU_DEP_1) | instskip(NEXT) | instid1(VALU_DEP_2)
	v_cmp_le_u32_e32 vcc_lo, s16, v14
	v_add_nc_u32_e32 v15, 1, v11
	s_delay_alu instid0(VALU_DEP_1)
	v_cndmask_b32_e32 v18, v11, v15, vcc_lo
.LBB1_31:                               ;   in Loop: Header=BB1_19 Depth=2
	s_or_b32 exec_lo, exec_lo, s2
	v_mad_nc_u64_u32 v[20:21], v10, s18, v[12:13]
	s_delay_alu instid0(VALU_DEP_1)
	v_dual_mov_b32 v13, 0xff800000 :: v_dual_add_nc_u32 v14, v3, v20
	s_and_saveexec_b32 s5, s1
	s_cbranch_execz .LBB1_18
; %bb.32:                               ;   in Loop: Header=BB1_19 Depth=2
	v_mad_nc_u64_u32 v[16:17], s30, v20, v[4:5]
	v_sub_nc_u32_e32 v13, v18, v20
	s_mov_b32 s7, 0
	s_mov_b32 s36, 0
	s_delay_alu instid0(VALU_DEP_2) | instskip(SKIP_3) | instid1(VALU_DEP_3)
	v_mad_u32 v11, s31, v20, v17
	v_dual_ashrrev_i32 v17, 31, v20 :: v_dual_add_nc_u32 v10, v26, v10
	v_add_nc_u32_e32 v15, 1, v13
	v_mov_b32_e32 v13, 0xff800000
	v_mad_u32 v12, s9, v10, v12
	s_delay_alu instid0(VALU_DEP_3)
	v_cmp_lt_i32_e32 vcc_lo, 0, v15
	v_mad_u32 v17, s30, v17, v11
	s_branch .LBB1_34
.LBB1_33:                               ;   in Loop: Header=BB1_34 Depth=3
	s_or_b32 exec_lo, exec_lo, s37
	s_add_co_i32 s36, s36, 1
	s_delay_alu instid0(VALU_DEP_1) | instskip(SKIP_1) | instid1(VALU_DEP_3)
	v_add_nc_u64_e32 v[16:17], s[26:27], v[16:17]
	v_cmp_ge_i32_e64 s2, s36, v25
	v_add_nc_u32_e32 v12, s9, v12
	s_or_b32 s7, s2, s7
	s_delay_alu instid0(SALU_CYCLE_1)
	s_and_not1_b32 exec_lo, exec_lo, s7
	s_cbranch_execz .LBB1_17
.LBB1_34:                               ;   Parent Loop BB1_3 Depth=1
                                        ;     Parent Loop BB1_19 Depth=2
                                        ; =>    This Loop Header: Depth=3
                                        ;         Child Loop BB1_36 Depth 4
	s_and_saveexec_b32 s37, vcc_lo
	s_cbranch_execz .LBB1_33
; %bb.35:                               ;   in Loop: Header=BB1_34 Depth=3
	s_delay_alu instid0(VALU_DEP_1)
	v_mov_b64_e32 v[10:11], v[16:17]
	s_mov_b32 s43, 0
	s_mov_b32 s44, 0
.LBB1_36:                               ;   Parent Loop BB1_3 Depth=1
                                        ;     Parent Loop BB1_19 Depth=2
                                        ;       Parent Loop BB1_34 Depth=3
                                        ; =>      This Inner Loop Header: Depth=4
	global_load_b32 v18, v[10:11], off
	s_wait_xcnt 0x0
	v_add_nc_u64_e32 v[10:11], s[30:31], v[10:11]
	s_wait_loadcnt 0x0
	v_cmp_gt_f32_e64 s2, v18, v13
	v_cmp_u_f32_e64 s3, v18, v18
	s_or_b32 s2, s2, s3
	s_delay_alu instid0(SALU_CYCLE_1) | instskip(SKIP_1) | instid1(SALU_CYCLE_1)
	v_dual_add_nc_u32 v19, s44, v12 :: v_dual_cndmask_b32 v13, v13, v18, s2
	s_add_co_i32 s44, s44, 1
	v_cmp_ge_i32_e64 s4, s44, v15
	s_delay_alu instid0(VALU_DEP_2) | instskip(SKIP_1) | instid1(SALU_CYCLE_1)
	v_cndmask_b32_e64 v14, v14, v19, s2
	s_or_b32 s43, s4, s43
	s_and_not1_b32 exec_lo, exec_lo, s43
	s_cbranch_execnz .LBB1_36
; %bb.37:                               ;   in Loop: Header=BB1_34 Depth=3
	s_or_b32 exec_lo, exec_lo, s43
	s_branch .LBB1_33
.LBB1_38:
	s_endpgm
	.section	.rodata,"a",@progbits
	.p2align	6, 0x0
	.amdhsa_kernel _ZN2at6native12_GLOBAL__N_115adaptivemaxpoolIfEEvPKT_PS3_Pliiiilll
		.amdhsa_group_segment_fixed_size 0
		.amdhsa_private_segment_fixed_size 0
		.amdhsa_kernarg_size 320
		.amdhsa_user_sgpr_count 2
		.amdhsa_user_sgpr_dispatch_ptr 0
		.amdhsa_user_sgpr_queue_ptr 0
		.amdhsa_user_sgpr_kernarg_segment_ptr 1
		.amdhsa_user_sgpr_dispatch_id 0
		.amdhsa_user_sgpr_kernarg_preload_length 0
		.amdhsa_user_sgpr_kernarg_preload_offset 0
		.amdhsa_user_sgpr_private_segment_size 0
		.amdhsa_wavefront_size32 1
		.amdhsa_uses_dynamic_stack 0
		.amdhsa_enable_private_segment 0
		.amdhsa_system_sgpr_workgroup_id_x 1
		.amdhsa_system_sgpr_workgroup_id_y 1
		.amdhsa_system_sgpr_workgroup_id_z 0
		.amdhsa_system_sgpr_workgroup_info 0
		.amdhsa_system_vgpr_workitem_id 1
		.amdhsa_next_free_vgpr 34
		.amdhsa_next_free_sgpr 56
		.amdhsa_named_barrier_count 0
		.amdhsa_reserve_vcc 1
		.amdhsa_float_round_mode_32 0
		.amdhsa_float_round_mode_16_64 0
		.amdhsa_float_denorm_mode_32 3
		.amdhsa_float_denorm_mode_16_64 3
		.amdhsa_fp16_overflow 0
		.amdhsa_memory_ordered 1
		.amdhsa_forward_progress 1
		.amdhsa_inst_pref_size 39
		.amdhsa_round_robin_scheduling 0
		.amdhsa_exception_fp_ieee_invalid_op 0
		.amdhsa_exception_fp_denorm_src 0
		.amdhsa_exception_fp_ieee_div_zero 0
		.amdhsa_exception_fp_ieee_overflow 0
		.amdhsa_exception_fp_ieee_underflow 0
		.amdhsa_exception_fp_ieee_inexact 0
		.amdhsa_exception_int_div_zero 0
	.end_amdhsa_kernel
	.section	.text._ZN2at6native12_GLOBAL__N_115adaptivemaxpoolIfEEvPKT_PS3_Pliiiilll,"axG",@progbits,_ZN2at6native12_GLOBAL__N_115adaptivemaxpoolIfEEvPKT_PS3_Pliiiilll,comdat
.Lfunc_end1:
	.size	_ZN2at6native12_GLOBAL__N_115adaptivemaxpoolIfEEvPKT_PS3_Pliiiilll, .Lfunc_end1-_ZN2at6native12_GLOBAL__N_115adaptivemaxpoolIfEEvPKT_PS3_Pliiiilll
                                        ; -- End function
	.set _ZN2at6native12_GLOBAL__N_115adaptivemaxpoolIfEEvPKT_PS3_Pliiiilll.num_vgpr, 34
	.set _ZN2at6native12_GLOBAL__N_115adaptivemaxpoolIfEEvPKT_PS3_Pliiiilll.num_agpr, 0
	.set _ZN2at6native12_GLOBAL__N_115adaptivemaxpoolIfEEvPKT_PS3_Pliiiilll.numbered_sgpr, 56
	.set _ZN2at6native12_GLOBAL__N_115adaptivemaxpoolIfEEvPKT_PS3_Pliiiilll.num_named_barrier, 0
	.set _ZN2at6native12_GLOBAL__N_115adaptivemaxpoolIfEEvPKT_PS3_Pliiiilll.private_seg_size, 0
	.set _ZN2at6native12_GLOBAL__N_115adaptivemaxpoolIfEEvPKT_PS3_Pliiiilll.uses_vcc, 1
	.set _ZN2at6native12_GLOBAL__N_115adaptivemaxpoolIfEEvPKT_PS3_Pliiiilll.uses_flat_scratch, 0
	.set _ZN2at6native12_GLOBAL__N_115adaptivemaxpoolIfEEvPKT_PS3_Pliiiilll.has_dyn_sized_stack, 0
	.set _ZN2at6native12_GLOBAL__N_115adaptivemaxpoolIfEEvPKT_PS3_Pliiiilll.has_recursion, 0
	.set _ZN2at6native12_GLOBAL__N_115adaptivemaxpoolIfEEvPKT_PS3_Pliiiilll.has_indirect_call, 0
	.section	.AMDGPU.csdata,"",@progbits
; Kernel info:
; codeLenInByte = 4964
; TotalNumSgprs: 58
; NumVgprs: 34
; ScratchSize: 0
; MemoryBound: 0
; FloatMode: 240
; IeeeMode: 1
; LDSByteSize: 0 bytes/workgroup (compile time only)
; SGPRBlocks: 0
; VGPRBlocks: 2
; NumSGPRsForWavesPerEU: 58
; NumVGPRsForWavesPerEU: 34
; NamedBarCnt: 0
; Occupancy: 16
; WaveLimiterHint : 0
; COMPUTE_PGM_RSRC2:SCRATCH_EN: 0
; COMPUTE_PGM_RSRC2:USER_SGPR: 2
; COMPUTE_PGM_RSRC2:TRAP_HANDLER: 0
; COMPUTE_PGM_RSRC2:TGID_X_EN: 1
; COMPUTE_PGM_RSRC2:TGID_Y_EN: 1
; COMPUTE_PGM_RSRC2:TGID_Z_EN: 0
; COMPUTE_PGM_RSRC2:TIDIG_COMP_CNT: 1
	.section	.text._ZN2at6native12_GLOBAL__N_115adaptivemaxpoolIN3c104HalfEEEvPKT_PS5_Pliiiilll,"axG",@progbits,_ZN2at6native12_GLOBAL__N_115adaptivemaxpoolIN3c104HalfEEEvPKT_PS5_Pliiiilll,comdat
	.globl	_ZN2at6native12_GLOBAL__N_115adaptivemaxpoolIN3c104HalfEEEvPKT_PS5_Pliiiilll ; -- Begin function _ZN2at6native12_GLOBAL__N_115adaptivemaxpoolIN3c104HalfEEEvPKT_PS5_Pliiiilll
	.p2align	8
	.type	_ZN2at6native12_GLOBAL__N_115adaptivemaxpoolIN3c104HalfEEEvPKT_PS5_Pliiiilll,@function
_ZN2at6native12_GLOBAL__N_115adaptivemaxpoolIN3c104HalfEEEvPKT_PS5_Pliiiilll: ; @_ZN2at6native12_GLOBAL__N_115adaptivemaxpoolIN3c104HalfEEEvPKT_PS5_Pliiiilll
; %bb.0:
	s_clause 0x1
	s_load_b32 s3, s[0:1], 0x4c
	s_load_b128 s[8:11], s[0:1], 0x18
	s_bfe_u32 s2, ttmp6, 0x40010
	s_bfe_u32 s5, ttmp6, 0x40004
	s_add_co_i32 s2, s2, 1
	s_getreg_b32 s4, hwreg(HW_REG_IB_STS2, 6, 4)
	s_mul_i32 s2, ttmp7, s2
	v_bfe_u32 v1, v0, 10, 10
	s_add_co_i32 s5, s5, s2
	s_mov_b32 s6, 0
	s_wait_kmcnt 0x0
	s_lshr_b32 s2, s3, 16
	s_cmp_eq_u32 s4, 0
	s_cselect_b32 s5, ttmp7, s5
	s_delay_alu instid0(SALU_CYCLE_1) | instskip(SKIP_1) | instid1(VALU_DEP_1)
	v_mad_u32 v2, s5, s2, v1
	s_mov_b32 s5, exec_lo
	v_cmpx_gt_i32_e64 s10, v2
	s_cbranch_execz .LBB2_38
; %bb.1:
	s_bfe_u32 s5, ttmp6, 0x4000c
	s_and_b32 s7, ttmp6, 15
	s_add_co_i32 s5, s5, 1
	s_and_b32 s33, s3, 0xffff
	s_mul_i32 s5, ttmp9, s5
	s_mov_b32 s12, s10
	s_add_co_i32 s7, s7, s5
	s_cmp_eq_u32 s4, 0
	v_cvt_f32_u32_e32 v1, s12
	s_cselect_b32 s4, ttmp9, s7
	s_ashr_i32 s38, s10, 31
	v_and_b32_e32 v22, 0x3ff, v0
	s_add_co_i32 s3, s10, s38
	v_rcp_iflag_f32_e32 v1, v1
	s_xor_b32 s39, s3, s38
	s_add_nc_u64 s[22:23], s[0:1], 64
	v_cvt_f32_u32_e32 v3, s39
	s_clause 0x3
	s_load_b128 s[28:31], s[0:1], 0x0
	s_load_b64 s[24:25], s[0:1], 0x10
	s_load_b128 s[40:43], s[0:1], 0x28
	s_load_b64 s[34:35], s[0:1], 0x38
	s_wait_xcnt 0x0
	s_sub_co_i32 s0, 0, s39
	s_sub_co_i32 s3, 0, s10
	v_rcp_iflag_f32_e32 v3, v3
	s_load_b32 s1, s[22:23], 0x4
	s_ashr_i32 s5, s4, 31
	s_ashr_i32 s13, s10, 31
	s_mov_b32 s14, s8
	s_mov_b32 s16, s11
	;; [unrolled: 1-line block ×3, first 2 shown]
	v_nop
	v_dual_mul_f32 v0, 0x4f7ffffe, v3 :: v_dual_mul_f32 v3, 0x4f7ffffe, v1
	s_mov_b64 s[20:21], 0xffffffff
	s_ashr_i32 s15, s8, 31
	s_ashr_i32 s17, s11, 31
	s_delay_alu instid0(VALU_DEP_1) | instskip(SKIP_2) | instid1(VALU_DEP_2)
	v_cvt_u32_f32_e32 v0, v0
	v_cvt_u32_f32_e32 v3, v3
	s_ashr_i32 s19, s9, 31
	v_mul_lo_u32 v4, s0, v0
	s_delay_alu instid0(VALU_DEP_2)
	v_mul_lo_u32 v5, s3, v3
	s_mul_i32 s3, s10, s4
	s_wait_kmcnt 0x0
	s_mul_u64 s[4:5], s[40:41], s[4:5]
	s_mul_i32 s22, s3, s11
	v_cmp_gt_i32_e64 s0, s11, v22
	s_ashr_i32 s23, s22, 31
	s_lshl_b64 s[4:5], s[4:5], 1
	s_lshl_b64 s[26:27], s[22:23], 1
	;; [unrolled: 1-line block ×3, first 2 shown]
	s_add_nc_u64 s[22:23], s[30:31], s[26:27]
	v_mul_hi_u32 v4, v0, v4
	v_mul_hi_u32 v5, v3, v5
	v_mov_b32_e32 v1, 0
	s_add_nc_u64 s[24:25], s[24:25], s[36:37]
	s_lshl_b64 s[26:27], s[42:43], 1
	s_mul_i32 s40, s1, s2
	s_add_nc_u64 s[28:29], s[28:29], s[4:5]
	s_lshl_b64 s[30:31], s[34:35], 1
	s_ashr_i32 s34, s13, 31
	s_mov_b32 s41, 0
	s_delay_alu instid0(VALU_DEP_2)
	v_dual_add_nc_u32 v23, v0, v4 :: v_dual_add_nc_u32 v24, v3, v5
	s_branch .LBB2_3
.LBB2_2:                                ;   in Loop: Header=BB2_3 Depth=1
	s_or_b32 exec_lo, exec_lo, s35
	v_add_nc_u32_e32 v2, s40, v2
	s_delay_alu instid0(VALU_DEP_1) | instskip(SKIP_1) | instid1(SALU_CYCLE_1)
	v_cmp_le_i32_e32 vcc_lo, s10, v2
	s_or_b32 s41, vcc_lo, s41
	s_and_not1_b32 exec_lo, exec_lo, s41
	s_cbranch_execz .LBB2_38
.LBB2_3:                                ; =>This Loop Header: Depth=1
                                        ;     Child Loop BB2_19 Depth 2
                                        ;       Child Loop BB2_34 Depth 3
                                        ;         Child Loop BB2_36 Depth 4
	v_dual_mov_b32 v4, v1 :: v_dual_ashrrev_i32 v3, 31, v2
	s_mov_b32 s1, exec_lo
                                        ; implicit-def: $vgpr6_vgpr7
	s_delay_alu instid0(VALU_DEP_1) | instskip(NEXT) | instid1(VALU_DEP_1)
	v_or_b32_e32 v5, s13, v3
	v_cmpx_ne_u64_e32 0, v[4:5]
	s_xor_b32 s1, exec_lo, s1
	s_cbranch_execz .LBB2_5
; %bb.4:                                ;   in Loop: Header=BB2_3 Depth=1
	v_ashrrev_i32_e32 v0, 31, v2
	s_delay_alu instid0(VALU_DEP_1) | instskip(NEXT) | instid1(VALU_DEP_1)
	v_add_nc_u32_e32 v4, v2, v0
	v_xor_b32_e32 v4, v4, v0
	s_delay_alu instid0(VALU_DEP_1) | instskip(NEXT) | instid1(VALU_DEP_1)
	v_mul_hi_u32 v5, v4, v23
	v_mul_lo_u32 v6, v5, s39
	s_delay_alu instid0(VALU_DEP_1) | instskip(SKIP_1) | instid1(VALU_DEP_2)
	v_dual_sub_nc_u32 v4, v4, v6 :: v_dual_add_nc_u32 v6, 1, v5
	v_xor_b32_e32 v0, s38, v0
	v_subrev_nc_u32_e32 v7, s39, v4
	v_cmp_le_u32_e32 vcc_lo, s39, v4
	s_delay_alu instid0(VALU_DEP_2) | instskip(NEXT) | instid1(VALU_DEP_1)
	v_dual_cndmask_b32 v4, v4, v7 :: v_dual_cndmask_b32 v5, v5, v6
	v_cmp_le_u32_e32 vcc_lo, s39, v4
	s_delay_alu instid0(VALU_DEP_2) | instskip(NEXT) | instid1(VALU_DEP_1)
	v_add_nc_u32_e32 v6, 1, v5
	v_cndmask_b32_e32 v4, v5, v6, vcc_lo
	s_delay_alu instid0(VALU_DEP_1) | instskip(NEXT) | instid1(VALU_DEP_1)
	v_xor_b32_e32 v4, v4, v0
	v_sub_nc_u32_e32 v6, v4, v0
	s_delay_alu instid0(VALU_DEP_1)
	v_ashrrev_i32_e32 v7, 31, v6
.LBB2_5:                                ;   in Loop: Header=BB2_3 Depth=1
	s_and_not1_saveexec_b32 s1, s1
	s_cbranch_execz .LBB2_7
; %bb.6:                                ;   in Loop: Header=BB2_3 Depth=1
	v_mul_hi_u32 v0, v2, v24
	s_delay_alu instid0(VALU_DEP_1) | instskip(SKIP_1) | instid1(VALU_DEP_2)
	v_mul_lo_u32 v4, v0, s12
	v_add_nc_u32_e32 v5, 1, v0
	v_sub_nc_u32_e32 v4, v2, v4
	s_delay_alu instid0(VALU_DEP_1) | instskip(NEXT) | instid1(VALU_DEP_3)
	v_cmp_le_u32_e32 vcc_lo, s12, v4
	v_cndmask_b32_e32 v0, v0, v5, vcc_lo
	v_subrev_nc_u32_e32 v6, s12, v4
	s_delay_alu instid0(VALU_DEP_1) | instskip(NEXT) | instid1(VALU_DEP_1)
	v_dual_cndmask_b32 v4, v4, v6 :: v_dual_add_nc_u32 v5, 1, v0
	v_cmp_le_u32_e32 vcc_lo, s12, v4
	s_delay_alu instid0(VALU_DEP_2) | instskip(NEXT) | instid1(VALU_DEP_1)
	v_cndmask_b32_e32 v0, v0, v5, vcc_lo
	v_mov_b64_e32 v[6:7], v[0:1]
.LBB2_7:                                ;   in Loop: Header=BB2_3 Depth=1
	s_or_b32 exec_lo, exec_lo, s1
	s_delay_alu instid0(VALU_DEP_1) | instskip(SKIP_1) | instid1(VALU_DEP_2)
	v_mul_u64_e32 v[4:5], s[12:13], v[6:7]
	v_mov_b32_e32 v8, v1
	v_sub_nc_u64_e32 v[4:5], v[2:3], v[4:5]
	s_delay_alu instid0(VALU_DEP_1) | instskip(NEXT) | instid1(VALU_DEP_1)
	v_mul_u64_e32 v[4:5], s[14:15], v[4:5]
	v_or_b32_e32 v9, s13, v5
	s_delay_alu instid0(VALU_DEP_1) | instskip(SKIP_1) | instid1(SALU_CYCLE_1)
	v_cmp_ne_u64_e32 vcc_lo, 0, v[8:9]
                                        ; implicit-def: $vgpr8_vgpr9
	s_and_saveexec_b32 s1, vcc_lo
	s_xor_b32 s4, exec_lo, s1
	s_cbranch_execz .LBB2_9
; %bb.8:                                ;   in Loop: Header=BB2_3 Depth=1
	s_mov_b32 s35, s34
	s_mov_b32 s45, s6
	s_add_nc_u64 s[2:3], s[12:13], s[34:35]
	s_mov_b32 s49, s6
	s_xor_b64 s[2:3], s[2:3], s[34:35]
	v_dual_mov_b32 v13, v1 :: v_dual_ashrrev_i32 v8, 31, v5
	s_cvt_f32_u32 s1, s2
	s_cvt_f32_u32 s5, s3
	s_sub_nc_u64 s[42:43], 0, s[2:3]
	s_delay_alu instid0(VALU_DEP_1) | instskip(NEXT) | instid1(SALU_CYCLE_1)
	v_dual_mov_b32 v9, v8 :: v_dual_mov_b32 v17, v1
	s_fmamk_f32 s1, s5, 0x4f800000, s1
	s_delay_alu instid0(VALU_DEP_1) | instskip(NEXT) | instid1(SALU_CYCLE_2)
	v_add_nc_u64_e32 v[4:5], v[4:5], v[8:9]
	v_s_rcp_f32 s1, s1
	s_delay_alu instid0(VALU_DEP_1) | instskip(NEXT) | instid1(VALU_DEP_2)
	v_xor_b32_e32 v0, v4, v8
	v_xor_b32_e32 v12, v5, v8
	s_delay_alu instid0(TRANS32_DEP_1) | instskip(SKIP_1) | instid1(SALU_CYCLE_2)
	s_mul_f32 s1, s1, 0x5f7ffffc
	v_xor_b32_e32 v8, s34, v8
	s_mul_f32 s5, s1, 0x2f800000
	s_delay_alu instid0(SALU_CYCLE_3) | instskip(NEXT) | instid1(SALU_CYCLE_3)
	s_trunc_f32 s5, s5
	s_fmamk_f32 s1, s5, 0xcf800000, s1
	s_cvt_u32_f32 s37, s5
	s_delay_alu instid0(SALU_CYCLE_2) | instskip(NEXT) | instid1(SALU_CYCLE_3)
	s_cvt_u32_f32 s36, s1
	s_mul_u64 s[46:47], s[42:43], s[36:37]
	s_delay_alu instid0(SALU_CYCLE_1)
	s_mul_hi_u32 s51, s36, s47
	s_mul_i32 s50, s36, s47
	s_mul_hi_u32 s44, s36, s46
	s_mul_i32 s5, s37, s46
	s_add_nc_u64 s[44:45], s[44:45], s[50:51]
	s_mul_hi_u32 s1, s37, s46
	s_mul_hi_u32 s7, s37, s47
	s_add_co_u32 s5, s44, s5
	s_add_co_ci_u32 s48, s45, s1
	s_mul_i32 s46, s37, s47
	s_add_co_ci_u32 s47, s7, 0
	s_delay_alu instid0(SALU_CYCLE_1) | instskip(SKIP_3) | instid1(SALU_CYCLE_1)
	s_add_nc_u64 s[44:45], s[48:49], s[46:47]
	s_mov_b32 s47, s6
	s_add_co_u32 s36, s36, s44
	s_cselect_b32 s1, -1, 0
	s_cmp_lg_u32 s1, 0
	s_add_co_ci_u32 s37, s37, s45
	s_mov_b32 s45, s6
	s_mul_u64 s[42:43], s[42:43], s[36:37]
	s_delay_alu instid0(SALU_CYCLE_1)
	s_mul_hi_u32 s49, s36, s43
	s_mul_i32 s48, s36, s43
	s_mul_hi_u32 s46, s36, s42
	s_mul_i32 s5, s37, s42
	s_add_nc_u64 s[46:47], s[46:47], s[48:49]
	s_mul_hi_u32 s1, s37, s42
	s_mul_hi_u32 s7, s37, s43
	s_add_co_u32 s5, s46, s5
	s_add_co_ci_u32 s44, s47, s1
	s_mul_i32 s42, s37, s43
	s_add_co_ci_u32 s43, s7, 0
	s_delay_alu instid0(SALU_CYCLE_1) | instskip(NEXT) | instid1(SALU_CYCLE_1)
	s_add_nc_u64 s[42:43], s[44:45], s[42:43]
	s_add_co_u32 s36, s36, s42
	s_cselect_b32 s1, -1, 0
	v_mul_hi_u32 v16, v0, s36
	s_cmp_lg_u32 s1, 0
	s_add_co_ci_u32 s44, s37, s43
	s_and_b64 s[42:43], s[36:37], s[20:21]
	v_mul_u64_e32 v[10:11], s[44:45], v[0:1]
	v_mul_u64_e32 v[4:5], s[42:43], v[12:13]
	;; [unrolled: 1-line block ×3, first 2 shown]
	s_delay_alu instid0(VALU_DEP_3) | instskip(NEXT) | instid1(VALU_DEP_1)
	v_add_nc_u64_e32 v[10:11], v[16:17], v[10:11]
	v_add_co_u32 v4, vcc_lo, v10, v4
	s_delay_alu instid0(VALU_DEP_2) | instskip(NEXT) | instid1(VALU_DEP_4)
	v_add_co_ci_u32_e32 v16, vcc_lo, v11, v5, vcc_lo
	v_add_co_ci_u32_e32 v15, vcc_lo, 0, v15, vcc_lo
	s_delay_alu instid0(VALU_DEP_1) | instskip(NEXT) | instid1(VALU_DEP_1)
	v_add_nc_u64_e32 v[4:5], v[16:17], v[14:15]
	v_mul_u64_e32 v[10:11], s[2:3], v[4:5]
	s_delay_alu instid0(VALU_DEP_1) | instskip(NEXT) | instid1(VALU_DEP_2)
	v_sub_nc_u32_e32 v7, v12, v11
	v_sub_co_u32 v0, vcc_lo, v0, v10
	s_delay_alu instid0(VALU_DEP_1) | instskip(NEXT) | instid1(VALU_DEP_3)
	v_sub_co_ci_u32_e64 v14, null, v12, v11, vcc_lo
	v_subrev_co_ci_u32_e64 v7, null, s3, v7, vcc_lo
	s_delay_alu instid0(VALU_DEP_3) | instskip(SKIP_1) | instid1(VALU_DEP_3)
	v_sub_co_u32 v9, s1, v0, s2
	v_add_nc_u64_e32 v[12:13], 1, v[4:5]
	v_subrev_co_ci_u32_e64 v7, null, 0, v7, s1
	s_delay_alu instid0(VALU_DEP_3) | instskip(SKIP_1) | instid1(VALU_DEP_3)
	v_cmp_le_u32_e32 vcc_lo, s2, v9
	v_cndmask_b32_e64 v9, 0, -1, vcc_lo
	v_cmp_le_u32_e32 vcc_lo, s3, v7
	v_cndmask_b32_e64 v10, 0, -1, vcc_lo
	;; [unrolled: 2-line block ×4, first 2 shown]
	v_cmp_eq_u32_e32 vcc_lo, s3, v7
	v_cndmask_b32_e32 v7, v10, v9, vcc_lo
	v_cmp_eq_u32_e32 vcc_lo, s3, v14
	v_add_nc_u64_e32 v[10:11], 2, v[4:5]
	v_cndmask_b32_e32 v0, v15, v0, vcc_lo
	s_delay_alu instid0(VALU_DEP_4) | instskip(NEXT) | instid1(VALU_DEP_2)
	v_cmp_ne_u32_e32 vcc_lo, 0, v7
	v_cmp_ne_u32_e64 s1, 0, v0
	s_delay_alu instid0(VALU_DEP_4) | instskip(NEXT) | instid1(VALU_DEP_1)
	v_dual_cndmask_b32 v7, v13, v11 :: v_dual_cndmask_b32 v0, v12, v10
	v_dual_cndmask_b32 v5, v5, v7, s1 :: v_dual_cndmask_b32 v0, v4, v0, s1
	s_delay_alu instid0(VALU_DEP_1) | instskip(NEXT) | instid1(VALU_DEP_2)
	v_dual_mov_b32 v9, v8 :: v_dual_bitop2_b32 v5, v5, v8 bitop3:0x14
	v_xor_b32_e32 v4, v0, v8
	s_delay_alu instid0(VALU_DEP_1)
	v_sub_nc_u64_e32 v[8:9], v[4:5], v[8:9]
                                        ; implicit-def: $vgpr4_vgpr5
.LBB2_9:                                ;   in Loop: Header=BB2_3 Depth=1
	s_and_not1_saveexec_b32 s1, s4
	s_cbranch_execz .LBB2_11
; %bb.10:                               ;   in Loop: Header=BB2_3 Depth=1
	s_delay_alu instid0(VALU_DEP_3) | instskip(NEXT) | instid1(VALU_DEP_1)
	v_mul_hi_u32 v0, v4, v24
	v_mul_lo_u32 v5, v0, s12
	s_delay_alu instid0(VALU_DEP_1) | instskip(NEXT) | instid1(VALU_DEP_1)
	v_dual_sub_nc_u32 v4, v4, v5 :: v_dual_add_nc_u32 v5, 1, v0
	v_subrev_nc_u32_e32 v7, s12, v4
	v_cmp_le_u32_e32 vcc_lo, s12, v4
	s_delay_alu instid0(VALU_DEP_3) | instskip(NEXT) | instid1(VALU_DEP_1)
	v_cndmask_b32_e32 v0, v0, v5, vcc_lo
	v_dual_cndmask_b32 v4, v4, v7 :: v_dual_add_nc_u32 v5, 1, v0
	s_delay_alu instid0(VALU_DEP_1) | instskip(NEXT) | instid1(VALU_DEP_2)
	v_cmp_le_u32_e32 vcc_lo, s12, v4
	v_cndmask_b32_e32 v0, v0, v5, vcc_lo
	s_delay_alu instid0(VALU_DEP_1)
	v_mov_b64_e32 v[8:9], v[0:1]
.LBB2_11:                               ;   in Loop: Header=BB2_3 Depth=1
	s_or_b32 exec_lo, exec_lo, s1
	v_add_nc_u64_e32 v[10:11], 1, v[2:3]
	s_delay_alu instid0(VALU_DEP_1) | instskip(NEXT) | instid1(VALU_DEP_1)
	v_mad_nc_u64_u32 v[4:5], v10, s14, -1
	v_mad_u32 v0, v11, s14, v5
	s_delay_alu instid0(VALU_DEP_1) | instskip(NEXT) | instid1(VALU_DEP_1)
	v_mad_u32 v5, v10, s15, v0
	v_dual_mov_b32 v10, v1 :: v_dual_bitop2_b32 v11, s13, v5 bitop3:0x54
	s_delay_alu instid0(VALU_DEP_1) | instskip(SKIP_1) | instid1(SALU_CYCLE_1)
	v_cmp_ne_u64_e32 vcc_lo, 0, v[10:11]
                                        ; implicit-def: $vgpr10_vgpr11
	s_and_saveexec_b32 s1, vcc_lo
	s_xor_b32 s4, exec_lo, s1
	s_cbranch_execnz .LBB2_14
; %bb.12:                               ;   in Loop: Header=BB2_3 Depth=1
	s_and_not1_saveexec_b32 s1, s4
	s_cbranch_execnz .LBB2_15
.LBB2_13:                               ;   in Loop: Header=BB2_3 Depth=1
	s_or_b32 exec_lo, exec_lo, s1
	s_and_saveexec_b32 s35, s0
	s_cbranch_execz .LBB2_2
	s_branch .LBB2_16
.LBB2_14:                               ;   in Loop: Header=BB2_3 Depth=1
	s_mov_b32 s35, s34
	s_mov_b32 s45, s6
	s_add_nc_u64 s[2:3], s[12:13], s[34:35]
	s_mov_b32 s49, s6
	s_xor_b64 s[2:3], s[2:3], s[34:35]
	v_dual_mov_b32 v15, v1 :: v_dual_ashrrev_i32 v10, 31, v5
	s_cvt_f32_u32 s1, s2
	s_cvt_f32_u32 s5, s3
	s_sub_nc_u64 s[42:43], 0, s[2:3]
	s_delay_alu instid0(VALU_DEP_1) | instskip(NEXT) | instid1(SALU_CYCLE_1)
	v_mov_b32_e32 v11, v10
	s_fmamk_f32 s1, s5, 0x4f800000, s1
	s_delay_alu instid0(VALU_DEP_1) | instskip(NEXT) | instid1(SALU_CYCLE_2)
	v_add_nc_u64_e32 v[4:5], v[4:5], v[10:11]
	v_s_rcp_f32 s1, s1
	s_delay_alu instid0(VALU_DEP_1) | instskip(NEXT) | instid1(VALU_DEP_2)
	v_xor_b32_e32 v0, v4, v10
	v_xor_b32_e32 v14, v5, v10
	s_delay_alu instid0(TRANS32_DEP_1) | instskip(SKIP_1) | instid1(SALU_CYCLE_2)
	s_mul_f32 s1, s1, 0x5f7ffffc
	v_dual_mov_b32 v19, v1 :: v_dual_bitop2_b32 v10, s34, v10 bitop3:0x14
	s_mul_f32 s5, s1, 0x2f800000
	s_delay_alu instid0(SALU_CYCLE_3) | instskip(NEXT) | instid1(SALU_CYCLE_3)
	s_trunc_f32 s5, s5
	s_fmamk_f32 s1, s5, 0xcf800000, s1
	s_cvt_u32_f32 s37, s5
	s_delay_alu instid0(SALU_CYCLE_2) | instskip(NEXT) | instid1(SALU_CYCLE_3)
	s_cvt_u32_f32 s36, s1
	s_mul_u64 s[46:47], s[42:43], s[36:37]
	s_delay_alu instid0(SALU_CYCLE_1)
	s_mul_hi_u32 s51, s36, s47
	s_mul_i32 s50, s36, s47
	s_mul_hi_u32 s44, s36, s46
	s_mul_i32 s5, s37, s46
	s_add_nc_u64 s[44:45], s[44:45], s[50:51]
	s_mul_hi_u32 s1, s37, s46
	s_mul_hi_u32 s7, s37, s47
	s_add_co_u32 s5, s44, s5
	s_add_co_ci_u32 s48, s45, s1
	s_mul_i32 s46, s37, s47
	s_add_co_ci_u32 s47, s7, 0
	s_delay_alu instid0(SALU_CYCLE_1) | instskip(SKIP_3) | instid1(SALU_CYCLE_1)
	s_add_nc_u64 s[44:45], s[48:49], s[46:47]
	s_mov_b32 s47, s6
	s_add_co_u32 s36, s36, s44
	s_cselect_b32 s1, -1, 0
	s_cmp_lg_u32 s1, 0
	s_add_co_ci_u32 s37, s37, s45
	s_mov_b32 s45, s6
	s_mul_u64 s[42:43], s[42:43], s[36:37]
	s_delay_alu instid0(SALU_CYCLE_1)
	s_mul_hi_u32 s49, s36, s43
	s_mul_i32 s48, s36, s43
	s_mul_hi_u32 s46, s36, s42
	s_mul_i32 s5, s37, s42
	s_add_nc_u64 s[46:47], s[46:47], s[48:49]
	s_mul_hi_u32 s1, s37, s42
	s_mul_hi_u32 s7, s37, s43
	s_add_co_u32 s5, s46, s5
	s_add_co_ci_u32 s44, s47, s1
	s_mul_i32 s42, s37, s43
	s_add_co_ci_u32 s43, s7, 0
	s_delay_alu instid0(SALU_CYCLE_1) | instskip(NEXT) | instid1(SALU_CYCLE_1)
	s_add_nc_u64 s[42:43], s[44:45], s[42:43]
	s_add_co_u32 s36, s36, s42
	s_cselect_b32 s1, -1, 0
	v_mul_hi_u32 v18, v0, s36
	s_cmp_lg_u32 s1, 0
	s_add_co_ci_u32 s44, s37, s43
	s_and_b64 s[42:43], s[36:37], s[20:21]
	v_mul_u64_e32 v[12:13], s[44:45], v[0:1]
	v_mul_u64_e32 v[4:5], s[42:43], v[14:15]
	;; [unrolled: 1-line block ×3, first 2 shown]
	s_delay_alu instid0(VALU_DEP_3) | instskip(NEXT) | instid1(VALU_DEP_1)
	v_add_nc_u64_e32 v[12:13], v[18:19], v[12:13]
	v_add_co_u32 v3, vcc_lo, v12, v4
	s_delay_alu instid0(VALU_DEP_2) | instskip(NEXT) | instid1(VALU_DEP_4)
	v_add_co_ci_u32_e32 v18, vcc_lo, v13, v5, vcc_lo
	v_add_co_ci_u32_e32 v17, vcc_lo, 0, v17, vcc_lo
	s_delay_alu instid0(VALU_DEP_1) | instskip(NEXT) | instid1(VALU_DEP_1)
	v_add_nc_u64_e32 v[4:5], v[18:19], v[16:17]
	v_mul_u64_e32 v[12:13], s[2:3], v[4:5]
	s_delay_alu instid0(VALU_DEP_1) | instskip(NEXT) | instid1(VALU_DEP_2)
	v_sub_nc_u32_e32 v3, v14, v13
	v_sub_co_u32 v0, vcc_lo, v0, v12
	s_delay_alu instid0(VALU_DEP_1) | instskip(NEXT) | instid1(VALU_DEP_3)
	v_sub_co_ci_u32_e64 v11, null, v14, v13, vcc_lo
	v_subrev_co_ci_u32_e64 v3, null, s3, v3, vcc_lo
	s_delay_alu instid0(VALU_DEP_3) | instskip(SKIP_1) | instid1(VALU_DEP_3)
	v_sub_co_u32 v7, s1, v0, s2
	v_add_nc_u64_e32 v[14:15], 1, v[4:5]
	v_subrev_co_ci_u32_e64 v3, null, 0, v3, s1
	s_delay_alu instid0(VALU_DEP_3) | instskip(SKIP_1) | instid1(VALU_DEP_3)
	v_cmp_le_u32_e32 vcc_lo, s2, v7
	v_cndmask_b32_e64 v7, 0, -1, vcc_lo
	v_cmp_le_u32_e32 vcc_lo, s3, v3
	v_cndmask_b32_e64 v12, 0, -1, vcc_lo
	;; [unrolled: 2-line block ×4, first 2 shown]
	v_cmp_eq_u32_e32 vcc_lo, s3, v3
	v_cndmask_b32_e32 v3, v12, v7, vcc_lo
	v_cmp_eq_u32_e32 vcc_lo, s3, v11
	v_add_nc_u64_e32 v[12:13], 2, v[4:5]
	v_cndmask_b32_e32 v0, v16, v0, vcc_lo
	s_delay_alu instid0(VALU_DEP_4) | instskip(NEXT) | instid1(VALU_DEP_3)
	v_cmp_ne_u32_e32 vcc_lo, 0, v3
	v_cndmask_b32_e32 v3, v15, v13, vcc_lo
	s_delay_alu instid0(VALU_DEP_3) | instskip(NEXT) | instid1(VALU_DEP_1)
	v_cmp_ne_u32_e64 s1, 0, v0
	v_dual_cndmask_b32 v0, v14, v12, vcc_lo :: v_dual_cndmask_b32 v3, v5, v3, s1
	s_delay_alu instid0(VALU_DEP_1) | instskip(NEXT) | instid1(VALU_DEP_2)
	v_dual_cndmask_b32 v0, v4, v0, s1 :: v_dual_mov_b32 v11, v10
	v_xor_b32_e32 v5, v3, v10
	s_delay_alu instid0(VALU_DEP_2) | instskip(NEXT) | instid1(VALU_DEP_1)
	v_xor_b32_e32 v4, v0, v10
	v_sub_nc_u64_e32 v[10:11], v[4:5], v[10:11]
                                        ; implicit-def: $vgpr4_vgpr5
	s_and_not1_saveexec_b32 s1, s4
	s_cbranch_execz .LBB2_13
.LBB2_15:                               ;   in Loop: Header=BB2_3 Depth=1
	v_mul_hi_u32 v0, v4, v24
	s_delay_alu instid0(VALU_DEP_1) | instskip(NEXT) | instid1(VALU_DEP_1)
	v_mul_lo_u32 v3, v0, s12
	v_dual_sub_nc_u32 v3, v4, v3 :: v_dual_add_nc_u32 v4, 1, v0
	s_delay_alu instid0(VALU_DEP_1) | instskip(SKIP_1) | instid1(VALU_DEP_2)
	v_subrev_nc_u32_e32 v5, s12, v3
	v_cmp_le_u32_e32 vcc_lo, s12, v3
	v_dual_cndmask_b32 v3, v3, v5 :: v_dual_cndmask_b32 v0, v0, v4
	s_delay_alu instid0(VALU_DEP_1) | instskip(NEXT) | instid1(VALU_DEP_2)
	v_cmp_le_u32_e32 vcc_lo, s12, v3
	v_add_nc_u32_e32 v4, 1, v0
	s_delay_alu instid0(VALU_DEP_1)
	v_cndmask_b32_e32 v10, v0, v4, vcc_lo
	s_or_b32 exec_lo, exec_lo, s1
	s_and_saveexec_b32 s35, s0
	s_cbranch_execz .LBB2_2
.LBB2_16:                               ;   in Loop: Header=BB2_3 Depth=1
	v_mad_nc_u64_u32 v[12:13], v6, s14, v[8:9]
	v_mul_lo_u32 v14, v2, s11
	v_mad_u32 v26, s8, v6, v8
	s_mov_b32 s42, 0
	s_delay_alu instid0(VALU_DEP_3) | instskip(SKIP_2) | instid1(VALU_DEP_3)
	v_mad_nc_u64_u32 v[4:5], s26, v12, s[28:29]
	v_mul_lo_u32 v3, s9, v12
	v_ashrrev_i32_e32 v7, 31, v12
	v_mad_u32 v0, s27, v12, v5
	v_dual_sub_nc_u32 v5, v10, v12 :: v_dual_ashrrev_i32 v15, 31, v14
	s_delay_alu instid0(VALU_DEP_1) | instskip(NEXT) | instid1(VALU_DEP_2)
	v_add_nc_u32_e32 v25, 1, v5
	v_lshl_add_u64 v[8:9], v[14:15], 3, s[24:25]
	s_delay_alu instid0(VALU_DEP_2)
	v_cmp_lt_i32_e64 s1, 0, v25
	v_mad_u32 v5, s26, v7, v0
	v_lshl_add_u64 v[6:7], v[14:15], 1, s[22:23]
	v_mov_b32_e32 v0, v22
	s_branch .LBB2_19
.LBB2_17:                               ;   in Loop: Header=BB2_19 Depth=2
	s_or_b32 exec_lo, exec_lo, s7
.LBB2_18:                               ;   in Loop: Header=BB2_19 Depth=2
	s_delay_alu instid0(SALU_CYCLE_1)
	s_or_b32 exec_lo, exec_lo, s5
	v_lshl_add_u64 v[10:11], v[0:1], 1, v[6:7]
	v_lshl_add_u64 v[16:17], v[0:1], 3, v[8:9]
	v_dual_add_nc_u32 v0, s33, v0 :: v_dual_ashrrev_i32 v15, 31, v14
	global_store_b16 v[10:11], v13, off
	global_store_b64 v[16:17], v[14:15], off
	v_cmp_le_i32_e32 vcc_lo, s11, v0
	s_or_b32 s42, vcc_lo, s42
	s_wait_xcnt 0x0
	s_and_not1_b32 exec_lo, exec_lo, s42
	s_cbranch_execz .LBB2_2
.LBB2_19:                               ;   Parent Loop BB2_3 Depth=1
                                        ; =>  This Loop Header: Depth=2
                                        ;       Child Loop BB2_34 Depth 3
                                        ;         Child Loop BB2_36 Depth 4
	s_mov_b32 s7, s17
                                        ; implicit-def: $vgpr10_vgpr11
	s_delay_alu instid0(SALU_CYCLE_1) | instskip(SKIP_1) | instid1(SALU_CYCLE_1)
	s_cmp_lg_u64 s[6:7], 0
	s_cselect_b32 s2, -1, 0
	s_and_saveexec_b32 s3, s2
	s_delay_alu instid0(SALU_CYCLE_1)
	s_xor_b32 s3, exec_lo, s3
	s_cbranch_execz .LBB2_21
; %bb.20:                               ;   in Loop: Header=BB2_19 Depth=2
	s_ashr_i32 s4, s17, 31
	s_mov_b32 s49, s6
	s_mov_b32 s5, s4
	;; [unrolled: 1-line block ×3, first 2 shown]
	s_add_nc_u64 s[36:37], s[16:17], s[4:5]
	v_add_nc_u64_e32 v[10:11], 0, v[0:1]
	s_xor_b64 s[36:37], s[36:37], s[4:5]
	v_mov_b32_e32 v13, v1
	s_cvt_f32_u32 s2, s36
	s_cvt_f32_u32 s5, s37
	s_sub_nc_u64 s[46:47], 0, s[36:37]
	s_delay_alu instid0(VALU_DEP_2) | instskip(NEXT) | instid1(SALU_CYCLE_1)
	v_dual_mov_b32 v15, v1 :: v_dual_mov_b32 v14, v11
	s_fmamk_f32 s2, s5, 0x4f800000, s2
	v_dual_mov_b32 v12, v10 :: v_dual_mov_b32 v19, v1
	s_delay_alu instid0(SALU_CYCLE_2) | instskip(NEXT) | instid1(TRANS32_DEP_1)
	v_s_rcp_f32 s2, s2
	s_mul_f32 s2, s2, 0x5f7ffffc
	s_delay_alu instid0(SALU_CYCLE_3) | instskip(NEXT) | instid1(SALU_CYCLE_3)
	s_mul_f32 s5, s2, 0x2f800000
	s_trunc_f32 s5, s5
	s_delay_alu instid0(SALU_CYCLE_3) | instskip(SKIP_1) | instid1(SALU_CYCLE_2)
	s_fmamk_f32 s2, s5, 0xcf800000, s2
	s_cvt_u32_f32 s45, s5
	s_cvt_u32_f32 s44, s2
	s_delay_alu instid0(SALU_CYCLE_3) | instskip(NEXT) | instid1(SALU_CYCLE_1)
	s_mul_u64 s[50:51], s[46:47], s[44:45]
	s_mul_hi_u32 s55, s44, s51
	s_mul_i32 s54, s44, s51
	s_mul_hi_u32 s48, s44, s50
	s_mul_i32 s5, s45, s50
	s_add_nc_u64 s[48:49], s[48:49], s[54:55]
	s_mul_hi_u32 s2, s45, s50
	s_mul_hi_u32 s7, s45, s51
	s_add_co_u32 s5, s48, s5
	s_add_co_ci_u32 s52, s49, s2
	s_mul_i32 s50, s45, s51
	s_add_co_ci_u32 s51, s7, 0
	s_delay_alu instid0(SALU_CYCLE_1) | instskip(SKIP_3) | instid1(SALU_CYCLE_1)
	s_add_nc_u64 s[48:49], s[52:53], s[50:51]
	s_mov_b32 s51, s6
	s_add_co_u32 s44, s44, s48
	s_cselect_b32 s2, -1, 0
	s_cmp_lg_u32 s2, 0
	s_add_co_ci_u32 s45, s45, s49
	s_mov_b32 s49, s6
	s_mul_u64 s[46:47], s[46:47], s[44:45]
	s_delay_alu instid0(SALU_CYCLE_1)
	s_mul_hi_u32 s53, s44, s47
	s_mul_i32 s52, s44, s47
	s_mul_hi_u32 s50, s44, s46
	s_mul_i32 s5, s45, s46
	s_add_nc_u64 s[50:51], s[50:51], s[52:53]
	s_mul_hi_u32 s2, s45, s46
	s_mul_hi_u32 s7, s45, s47
	s_add_co_u32 s5, s50, s5
	s_add_co_ci_u32 s48, s51, s2
	s_mul_i32 s46, s45, s47
	s_add_co_ci_u32 s47, s7, 0
	s_delay_alu instid0(SALU_CYCLE_1) | instskip(NEXT) | instid1(SALU_CYCLE_1)
	s_add_nc_u64 s[46:47], s[48:49], s[46:47]
	s_add_co_u32 s2, s44, s46
	s_cselect_b32 s5, -1, 0
	v_nop
	v_mul_hi_u32 v18, v10, s2
	s_cmp_lg_u32 s5, 0
	s_add_co_ci_u32 s48, s45, s47
	s_and_b64 s[44:45], s[2:3], s[20:21]
	v_mul_u64_e32 v[12:13], s[48:49], v[12:13]
	v_mul_u64_e32 v[16:17], s[44:45], v[14:15]
	;; [unrolled: 1-line block ×3, first 2 shown]
	s_delay_alu instid0(VALU_DEP_3) | instskip(NEXT) | instid1(VALU_DEP_1)
	v_add_nc_u64_e32 v[12:13], v[18:19], v[12:13]
	v_add_co_u32 v12, vcc_lo, v12, v16
	s_delay_alu instid0(VALU_DEP_2) | instskip(NEXT) | instid1(VALU_DEP_4)
	v_add_co_ci_u32_e32 v18, vcc_lo, v13, v17, vcc_lo
	v_add_co_ci_u32_e32 v15, vcc_lo, 0, v15, vcc_lo
	s_delay_alu instid0(VALU_DEP_1) | instskip(NEXT) | instid1(VALU_DEP_1)
	v_add_nc_u64_e32 v[12:13], v[18:19], v[14:15]
	v_mul_u64_e32 v[14:15], s[36:37], v[12:13]
	s_delay_alu instid0(VALU_DEP_1) | instskip(NEXT) | instid1(VALU_DEP_2)
	v_sub_nc_u32_e32 v16, v11, v15
	v_sub_co_u32 v10, vcc_lo, v10, v14
	s_delay_alu instid0(VALU_DEP_1) | instskip(NEXT) | instid1(VALU_DEP_3)
	v_sub_co_ci_u32_e64 v15, null, v11, v15, vcc_lo
	v_subrev_co_ci_u32_e64 v14, null, s37, v16, vcc_lo
	s_delay_alu instid0(VALU_DEP_3) | instskip(SKIP_1) | instid1(VALU_DEP_3)
	v_sub_co_u32 v18, s2, v10, s36
	v_cmp_le_u32_e32 vcc_lo, s36, v10
	v_subrev_co_ci_u32_e64 v14, null, 0, v14, s2
	s_delay_alu instid0(VALU_DEP_3) | instskip(SKIP_2) | instid1(VALU_DEP_4)
	v_cmp_le_u32_e64 s2, s36, v18
	v_add_nc_u64_e32 v[16:17], 2, v[12:13]
	v_cndmask_b32_e64 v20, 0, -1, vcc_lo
	v_cmp_eq_u32_e32 vcc_lo, s37, v14
	v_add_nc_u64_e32 v[10:11], 1, v[12:13]
	v_cndmask_b32_e64 v18, 0, -1, s2
	v_cmp_le_u32_e64 s2, s37, v14
	s_delay_alu instid0(VALU_DEP_1) | instskip(SKIP_1) | instid1(VALU_DEP_2)
	v_cndmask_b32_e64 v19, 0, -1, s2
	v_cmp_eq_u32_e64 s2, s37, v15
	v_cndmask_b32_e32 v14, v19, v18, vcc_lo
	v_cmp_le_u32_e32 vcc_lo, s37, v15
	v_cndmask_b32_e64 v18, 0, -1, vcc_lo
	s_delay_alu instid0(VALU_DEP_3) | instskip(NEXT) | instid1(VALU_DEP_2)
	v_cmp_ne_u32_e32 vcc_lo, 0, v14
	v_dual_cndmask_b32 v14, v18, v20, s2 :: v_dual_cndmask_b32 v11, v11, v17, vcc_lo
	v_cndmask_b32_e32 v10, v10, v16, vcc_lo
	s_delay_alu instid0(VALU_DEP_2) | instskip(NEXT) | instid1(VALU_DEP_2)
	v_cmp_ne_u32_e32 vcc_lo, 0, v14
	v_dual_cndmask_b32 v13, v13, v11 :: v_dual_cndmask_b32 v12, v12, v10
	v_dual_mov_b32 v11, s4 :: v_dual_mov_b32 v10, s4
	s_delay_alu instid0(VALU_DEP_2) | instskip(NEXT) | instid1(VALU_DEP_3)
	v_xor_b32_e32 v13, s4, v13
	v_xor_b32_e32 v12, s4, v12
	s_delay_alu instid0(VALU_DEP_1)
	v_sub_nc_u64_e32 v[10:11], v[12:13], v[10:11]
.LBB2_21:                               ;   in Loop: Header=BB2_19 Depth=2
	s_or_saveexec_b32 s2, s3
	v_cvt_f32_u32_e32 v16, s16
	s_xor_b32 exec_lo, exec_lo, s2
	s_cbranch_execz .LBB2_23
; %bb.22:                               ;   in Loop: Header=BB2_19 Depth=2
	s_delay_alu instid0(VALU_DEP_1) | instskip(SKIP_2) | instid1(TRANS32_DEP_1)
	v_rcp_iflag_f32_e32 v10, v16
	s_sub_co_i32 s3, 0, s16
	v_nop
	v_mul_f32_e32 v10, 0x4f7ffffe, v10
	s_delay_alu instid0(VALU_DEP_1) | instskip(NEXT) | instid1(VALU_DEP_1)
	v_cvt_u32_f32_e32 v10, v10
	v_mul_lo_u32 v11, s3, v10
	s_delay_alu instid0(VALU_DEP_1) | instskip(NEXT) | instid1(VALU_DEP_1)
	v_mul_hi_u32 v11, v10, v11
	v_add_nc_u32_e32 v10, v10, v11
	s_delay_alu instid0(VALU_DEP_1) | instskip(NEXT) | instid1(VALU_DEP_1)
	v_mul_hi_u32 v10, v0, v10
	v_mul_lo_u32 v11, v10, s16
	s_delay_alu instid0(VALU_DEP_1) | instskip(NEXT) | instid1(VALU_DEP_1)
	v_dual_add_nc_u32 v12, 1, v10 :: v_dual_sub_nc_u32 v11, v0, v11
	v_subrev_nc_u32_e32 v13, s16, v11
	v_cmp_le_u32_e32 vcc_lo, s16, v11
	s_delay_alu instid0(VALU_DEP_2) | instskip(NEXT) | instid1(VALU_DEP_1)
	v_dual_cndmask_b32 v11, v11, v13 :: v_dual_cndmask_b32 v10, v10, v12
	v_cmp_le_u32_e32 vcc_lo, s16, v11
	s_delay_alu instid0(VALU_DEP_2) | instskip(NEXT) | instid1(VALU_DEP_1)
	v_dual_mov_b32 v11, v1 :: v_dual_add_nc_u32 v12, 1, v10
	v_cndmask_b32_e32 v10, v10, v12, vcc_lo
.LBB2_23:                               ;   in Loop: Header=BB2_19 Depth=2
	s_or_b32 exec_lo, exec_lo, s2
	s_delay_alu instid0(VALU_DEP_1) | instskip(NEXT) | instid1(VALU_DEP_1)
	v_mul_u64_e32 v[12:13], s[16:17], v[10:11]
	v_sub_nc_u64_e32 v[12:13], v[0:1], v[12:13]
	s_delay_alu instid0(VALU_DEP_1) | instskip(NEXT) | instid1(VALU_DEP_1)
	v_mul_u64_e32 v[14:15], s[18:19], v[12:13]
	v_dual_mov_b32 v12, v1 :: v_dual_bitop2_b32 v13, s17, v15 bitop3:0x54
	s_delay_alu instid0(VALU_DEP_1) | instskip(SKIP_1) | instid1(SALU_CYCLE_1)
	v_cmp_ne_u64_e32 vcc_lo, 0, v[12:13]
                                        ; implicit-def: $vgpr12_vgpr13
	s_and_saveexec_b32 s2, vcc_lo
	s_xor_b32 s3, exec_lo, s2
	s_cbranch_execz .LBB2_25
; %bb.24:                               ;   in Loop: Header=BB2_19 Depth=2
	s_ashr_i32 s4, s17, 31
	s_mov_b32 s49, s6
	s_mov_b32 s5, s4
	;; [unrolled: 1-line block ×3, first 2 shown]
	s_add_nc_u64 s[36:37], s[16:17], s[4:5]
	v_dual_mov_b32 v19, v1 :: v_dual_ashrrev_i32 v12, 31, v15
	s_xor_b64 s[36:37], s[36:37], s[4:5]
	s_delay_alu instid0(SALU_CYCLE_1) | instskip(SKIP_3) | instid1(SALU_CYCLE_1)
	s_cvt_f32_u32 s2, s36
	s_cvt_f32_u32 s5, s37
	s_sub_nc_u64 s[46:47], 0, s[36:37]
	v_mov_b32_e32 v13, v12
	s_fmamk_f32 s2, s5, 0x4f800000, s2
	s_delay_alu instid0(VALU_DEP_1) | instskip(NEXT) | instid1(SALU_CYCLE_2)
	v_add_nc_u64_e32 v[14:15], v[14:15], v[12:13]
	v_s_rcp_f32 s2, s2
	s_delay_alu instid0(VALU_DEP_1) | instskip(NEXT) | instid1(VALU_DEP_2)
	v_dual_mov_b32 v29, v1 :: v_dual_bitop2_b32 v28, v15, v12 bitop3:0x14
	v_xor_b32_e32 v18, v14, v12
	s_delay_alu instid0(TRANS32_DEP_1) | instskip(SKIP_1) | instid1(SALU_CYCLE_2)
	s_mul_f32 s2, s2, 0x5f7ffffc
	v_mov_b32_e32 v33, v1
	s_mul_f32 s5, s2, 0x2f800000
	s_delay_alu instid0(SALU_CYCLE_3) | instskip(NEXT) | instid1(SALU_CYCLE_3)
	s_trunc_f32 s5, s5
	s_fmamk_f32 s2, s5, 0xcf800000, s2
	s_cvt_u32_f32 s45, s5
	s_delay_alu instid0(SALU_CYCLE_2) | instskip(NEXT) | instid1(SALU_CYCLE_3)
	s_cvt_u32_f32 s44, s2
	s_mul_u64 s[50:51], s[46:47], s[44:45]
	s_delay_alu instid0(SALU_CYCLE_1)
	s_mul_hi_u32 s55, s44, s51
	s_mul_i32 s54, s44, s51
	s_mul_hi_u32 s48, s44, s50
	s_mul_i32 s5, s45, s50
	s_add_nc_u64 s[48:49], s[48:49], s[54:55]
	s_mul_hi_u32 s2, s45, s50
	s_mul_hi_u32 s7, s45, s51
	s_add_co_u32 s5, s48, s5
	s_add_co_ci_u32 s52, s49, s2
	s_mul_i32 s50, s45, s51
	s_add_co_ci_u32 s51, s7, 0
	s_delay_alu instid0(SALU_CYCLE_1) | instskip(SKIP_3) | instid1(SALU_CYCLE_1)
	s_add_nc_u64 s[48:49], s[52:53], s[50:51]
	s_mov_b32 s51, s6
	s_add_co_u32 s44, s44, s48
	s_cselect_b32 s2, -1, 0
	s_cmp_lg_u32 s2, 0
	s_add_co_ci_u32 s45, s45, s49
	s_mov_b32 s49, s6
	s_mul_u64 s[46:47], s[46:47], s[44:45]
	s_delay_alu instid0(SALU_CYCLE_1)
	s_mul_hi_u32 s53, s44, s47
	s_mul_i32 s52, s44, s47
	s_mul_hi_u32 s50, s44, s46
	s_mul_i32 s5, s45, s46
	s_add_nc_u64 s[50:51], s[50:51], s[52:53]
	s_mul_hi_u32 s2, s45, s46
	s_mul_hi_u32 s7, s45, s47
	s_add_co_u32 s5, s50, s5
	s_add_co_ci_u32 s48, s51, s2
	s_mul_i32 s46, s45, s47
	s_add_co_ci_u32 s47, s7, 0
	s_delay_alu instid0(SALU_CYCLE_1) | instskip(NEXT) | instid1(SALU_CYCLE_1)
	s_add_nc_u64 s[46:47], s[48:49], s[46:47]
	s_add_co_u32 s2, s44, s46
	s_cselect_b32 s5, -1, 0
	v_mul_hi_u32 v32, v18, s2
	s_cmp_lg_u32 s5, 0
	s_add_co_ci_u32 s48, s45, s47
	s_and_b64 s[44:45], s[2:3], s[20:21]
	v_mul_u64_e32 v[20:21], s[48:49], v[18:19]
	v_mul_u64_e32 v[14:15], s[44:45], v[28:29]
	;; [unrolled: 1-line block ×3, first 2 shown]
	s_delay_alu instid0(VALU_DEP_3) | instskip(NEXT) | instid1(VALU_DEP_1)
	v_add_nc_u64_e32 v[20:21], v[32:33], v[20:21]
	v_add_co_u32 v11, vcc_lo, v20, v14
	s_delay_alu instid0(VALU_DEP_2) | instskip(NEXT) | instid1(VALU_DEP_4)
	v_add_co_ci_u32_e32 v32, vcc_lo, v21, v15, vcc_lo
	v_add_co_ci_u32_e32 v31, vcc_lo, 0, v31, vcc_lo
	s_delay_alu instid0(VALU_DEP_1) | instskip(NEXT) | instid1(VALU_DEP_1)
	v_add_nc_u64_e32 v[14:15], v[32:33], v[30:31]
	v_mul_u64_e32 v[20:21], s[36:37], v[14:15]
	s_delay_alu instid0(VALU_DEP_1) | instskip(NEXT) | instid1(VALU_DEP_2)
	v_sub_nc_u32_e32 v11, v28, v21
	v_sub_co_u32 v13, vcc_lo, v18, v20
	s_delay_alu instid0(VALU_DEP_1) | instskip(NEXT) | instid1(VALU_DEP_3)
	v_sub_co_ci_u32_e64 v27, null, v28, v21, vcc_lo
	v_subrev_co_ci_u32_e64 v11, null, s37, v11, vcc_lo
	s_delay_alu instid0(VALU_DEP_3) | instskip(SKIP_1) | instid1(VALU_DEP_3)
	v_sub_co_u32 v17, s2, v13, s36
	v_add_nc_u64_e32 v[20:21], 1, v[14:15]
	v_subrev_co_ci_u32_e64 v11, null, 0, v11, s2
	s_delay_alu instid0(VALU_DEP_3) | instskip(SKIP_1) | instid1(VALU_DEP_3)
	v_cmp_le_u32_e32 vcc_lo, s36, v17
	v_cndmask_b32_e64 v17, 0, -1, vcc_lo
	v_cmp_le_u32_e32 vcc_lo, s37, v11
	v_cndmask_b32_e64 v18, 0, -1, vcc_lo
	;; [unrolled: 2-line block ×4, first 2 shown]
	v_cmp_eq_u32_e32 vcc_lo, s37, v11
	v_cndmask_b32_e32 v11, v18, v17, vcc_lo
	v_cmp_eq_u32_e32 vcc_lo, s37, v27
	v_add_nc_u64_e32 v[18:19], 2, v[14:15]
	v_cndmask_b32_e32 v13, v28, v13, vcc_lo
	s_delay_alu instid0(VALU_DEP_4) | instskip(NEXT) | instid1(VALU_DEP_3)
	v_cmp_ne_u32_e32 vcc_lo, 0, v11
	v_cndmask_b32_e32 v11, v21, v19, vcc_lo
	s_delay_alu instid0(VALU_DEP_3) | instskip(SKIP_1) | instid1(VALU_DEP_1)
	v_cmp_ne_u32_e64 s2, 0, v13
	v_dual_cndmask_b32 v13, v20, v18, vcc_lo :: v_dual_bitop2_b32 v12, s4, v12 bitop3:0x14
	v_dual_cndmask_b32 v11, v15, v11, s2 :: v_dual_cndmask_b32 v14, v14, v13, s2
	s_delay_alu instid0(VALU_DEP_1) | instskip(NEXT) | instid1(VALU_DEP_2)
	v_dual_mov_b32 v13, v12 :: v_dual_bitop2_b32 v15, v11, v12 bitop3:0x14
	v_xor_b32_e32 v14, v14, v12
	s_delay_alu instid0(VALU_DEP_1)
	v_sub_nc_u64_e32 v[12:13], v[14:15], v[12:13]
                                        ; implicit-def: $vgpr14_vgpr15
.LBB2_25:                               ;   in Loop: Header=BB2_19 Depth=2
	s_and_not1_saveexec_b32 s2, s3
	s_cbranch_execz .LBB2_27
; %bb.26:                               ;   in Loop: Header=BB2_19 Depth=2
	v_rcp_iflag_f32_e32 v11, v16
	s_sub_co_i32 s3, 0, s16
	v_nop
	s_delay_alu instid0(TRANS32_DEP_1) | instskip(NEXT) | instid1(VALU_DEP_1)
	v_mul_f32_e32 v11, 0x4f7ffffe, v11
	v_cvt_u32_f32_e32 v11, v11
	s_delay_alu instid0(VALU_DEP_1) | instskip(NEXT) | instid1(VALU_DEP_1)
	v_mul_lo_u32 v12, s3, v11
	v_mul_hi_u32 v12, v11, v12
	s_delay_alu instid0(VALU_DEP_1) | instskip(NEXT) | instid1(VALU_DEP_1)
	v_add_nc_u32_e32 v11, v11, v12
	v_mul_hi_u32 v11, v14, v11
	s_delay_alu instid0(VALU_DEP_1) | instskip(NEXT) | instid1(VALU_DEP_1)
	v_mul_lo_u32 v12, v11, s16
	v_dual_add_nc_u32 v13, 1, v11 :: v_dual_sub_nc_u32 v12, v14, v12
	s_delay_alu instid0(VALU_DEP_1) | instskip(SKIP_1) | instid1(VALU_DEP_2)
	v_subrev_nc_u32_e32 v14, s16, v12
	v_cmp_le_u32_e32 vcc_lo, s16, v12
	v_dual_cndmask_b32 v12, v12, v14 :: v_dual_cndmask_b32 v11, v11, v13
	s_delay_alu instid0(VALU_DEP_1) | instskip(NEXT) | instid1(VALU_DEP_2)
	v_cmp_le_u32_e32 vcc_lo, s16, v12
	v_add_nc_u32_e32 v13, 1, v11
	s_delay_alu instid0(VALU_DEP_1)
	v_dual_cndmask_b32 v12, v11, v13 :: v_dual_mov_b32 v13, v1
.LBB2_27:                               ;   in Loop: Header=BB2_19 Depth=2
	s_or_b32 exec_lo, exec_lo, s2
	v_dual_mov_b32 v18, v1 :: v_dual_add_nc_u32 v11, 1, v0
	s_delay_alu instid0(VALU_DEP_1) | instskip(NEXT) | instid1(VALU_DEP_1)
	v_mad_nc_u64_u32 v[14:15], v11, s18, -1
	v_mad_u32 v15, v11, s19, v15
	s_delay_alu instid0(VALU_DEP_1) | instskip(NEXT) | instid1(VALU_DEP_1)
	v_or_b32_e32 v19, s17, v15
	v_cmp_ne_u64_e32 vcc_lo, 0, v[18:19]
                                        ; implicit-def: $vgpr18_vgpr19
	s_and_saveexec_b32 s2, vcc_lo
	s_delay_alu instid0(SALU_CYCLE_1)
	s_xor_b32 s3, exec_lo, s2
	s_cbranch_execz .LBB2_29
; %bb.28:                               ;   in Loop: Header=BB2_19 Depth=2
	s_ashr_i32 s4, s17, 31
	s_mov_b32 s49, s6
	s_mov_b32 s5, s4
	;; [unrolled: 1-line block ×3, first 2 shown]
	s_add_nc_u64 s[36:37], s[16:17], s[4:5]
	v_dual_mov_b32 v19, v1 :: v_dual_ashrrev_i32 v16, 31, v15
	s_xor_b64 s[36:37], s[36:37], s[4:5]
	s_delay_alu instid0(SALU_CYCLE_1) | instskip(SKIP_3) | instid1(SALU_CYCLE_1)
	s_cvt_f32_u32 s2, s36
	s_cvt_f32_u32 s5, s37
	s_sub_nc_u64 s[46:47], 0, s[36:37]
	v_mov_b32_e32 v17, v16
	s_fmamk_f32 s2, s5, 0x4f800000, s2
	s_delay_alu instid0(VALU_DEP_1) | instskip(NEXT) | instid1(SALU_CYCLE_2)
	v_add_nc_u64_e32 v[14:15], v[14:15], v[16:17]
	v_s_rcp_f32 s2, s2
	s_delay_alu instid0(VALU_DEP_1) | instskip(NEXT) | instid1(VALU_DEP_2)
	v_dual_mov_b32 v29, v1 :: v_dual_bitop2_b32 v28, v15, v16 bitop3:0x14
	v_xor_b32_e32 v18, v14, v16
	s_delay_alu instid0(TRANS32_DEP_1) | instskip(SKIP_1) | instid1(SALU_CYCLE_2)
	s_mul_f32 s2, s2, 0x5f7ffffc
	v_mov_b32_e32 v33, v1
	s_mul_f32 s5, s2, 0x2f800000
	s_delay_alu instid0(SALU_CYCLE_3) | instskip(NEXT) | instid1(SALU_CYCLE_3)
	s_trunc_f32 s5, s5
	s_fmamk_f32 s2, s5, 0xcf800000, s2
	s_cvt_u32_f32 s45, s5
	s_delay_alu instid0(SALU_CYCLE_2) | instskip(NEXT) | instid1(SALU_CYCLE_3)
	s_cvt_u32_f32 s44, s2
	s_mul_u64 s[50:51], s[46:47], s[44:45]
	s_delay_alu instid0(SALU_CYCLE_1)
	s_mul_hi_u32 s55, s44, s51
	s_mul_i32 s54, s44, s51
	s_mul_hi_u32 s48, s44, s50
	s_mul_i32 s5, s45, s50
	s_add_nc_u64 s[48:49], s[48:49], s[54:55]
	s_mul_hi_u32 s2, s45, s50
	s_mul_hi_u32 s7, s45, s51
	s_add_co_u32 s5, s48, s5
	s_add_co_ci_u32 s52, s49, s2
	s_mul_i32 s50, s45, s51
	s_add_co_ci_u32 s51, s7, 0
	s_delay_alu instid0(SALU_CYCLE_1) | instskip(SKIP_3) | instid1(SALU_CYCLE_1)
	s_add_nc_u64 s[48:49], s[52:53], s[50:51]
	s_mov_b32 s51, s6
	s_add_co_u32 s44, s44, s48
	s_cselect_b32 s2, -1, 0
	s_cmp_lg_u32 s2, 0
	s_add_co_ci_u32 s45, s45, s49
	s_mov_b32 s49, s6
	s_mul_u64 s[46:47], s[46:47], s[44:45]
	s_delay_alu instid0(SALU_CYCLE_1)
	s_mul_hi_u32 s53, s44, s47
	s_mul_i32 s52, s44, s47
	s_mul_hi_u32 s50, s44, s46
	s_mul_i32 s5, s45, s46
	s_add_nc_u64 s[50:51], s[50:51], s[52:53]
	s_mul_hi_u32 s2, s45, s46
	s_mul_hi_u32 s7, s45, s47
	s_add_co_u32 s5, s50, s5
	s_add_co_ci_u32 s48, s51, s2
	s_mul_i32 s46, s45, s47
	s_add_co_ci_u32 s47, s7, 0
	s_delay_alu instid0(SALU_CYCLE_1) | instskip(NEXT) | instid1(SALU_CYCLE_1)
	s_add_nc_u64 s[46:47], s[48:49], s[46:47]
	s_add_co_u32 s2, s44, s46
	s_cselect_b32 s5, -1, 0
	v_mul_hi_u32 v32, v18, s2
	s_cmp_lg_u32 s5, 0
	s_add_co_ci_u32 s48, s45, s47
	s_and_b64 s[44:45], s[2:3], s[20:21]
	v_mul_u64_e32 v[20:21], s[48:49], v[18:19]
	v_mul_u64_e32 v[14:15], s[44:45], v[28:29]
	;; [unrolled: 1-line block ×3, first 2 shown]
	s_delay_alu instid0(VALU_DEP_3) | instskip(NEXT) | instid1(VALU_DEP_1)
	v_add_nc_u64_e32 v[20:21], v[32:33], v[20:21]
	v_add_co_u32 v11, vcc_lo, v20, v14
	s_delay_alu instid0(VALU_DEP_2) | instskip(NEXT) | instid1(VALU_DEP_4)
	v_add_co_ci_u32_e32 v32, vcc_lo, v21, v15, vcc_lo
	v_add_co_ci_u32_e32 v31, vcc_lo, 0, v31, vcc_lo
	s_delay_alu instid0(VALU_DEP_1) | instskip(NEXT) | instid1(VALU_DEP_1)
	v_add_nc_u64_e32 v[14:15], v[32:33], v[30:31]
	v_mul_u64_e32 v[20:21], s[36:37], v[14:15]
	s_delay_alu instid0(VALU_DEP_1) | instskip(NEXT) | instid1(VALU_DEP_2)
	v_sub_nc_u32_e32 v11, v28, v21
	v_sub_co_u32 v17, vcc_lo, v18, v20
	s_delay_alu instid0(VALU_DEP_1) | instskip(NEXT) | instid1(VALU_DEP_3)
	v_sub_co_ci_u32_e64 v27, null, v28, v21, vcc_lo
	v_subrev_co_ci_u32_e64 v11, null, s37, v11, vcc_lo
	s_delay_alu instid0(VALU_DEP_3) | instskip(SKIP_1) | instid1(VALU_DEP_3)
	v_sub_co_u32 v18, s2, v17, s36
	v_add_nc_u64_e32 v[20:21], 1, v[14:15]
	v_subrev_co_ci_u32_e64 v11, null, 0, v11, s2
	s_delay_alu instid0(VALU_DEP_3) | instskip(SKIP_1) | instid1(VALU_DEP_3)
	v_cmp_le_u32_e32 vcc_lo, s36, v18
	v_cndmask_b32_e64 v18, 0, -1, vcc_lo
	v_cmp_le_u32_e32 vcc_lo, s37, v11
	v_cndmask_b32_e64 v19, 0, -1, vcc_lo
	;; [unrolled: 2-line block ×4, first 2 shown]
	v_cmp_eq_u32_e32 vcc_lo, s37, v11
	v_cndmask_b32_e32 v11, v19, v18, vcc_lo
	v_cmp_eq_u32_e32 vcc_lo, s37, v27
	v_add_nc_u64_e32 v[18:19], 2, v[14:15]
	v_cndmask_b32_e32 v17, v28, v17, vcc_lo
	s_delay_alu instid0(VALU_DEP_4) | instskip(NEXT) | instid1(VALU_DEP_2)
	v_cmp_ne_u32_e32 vcc_lo, 0, v11
	v_cmp_ne_u32_e64 s2, 0, v17
	s_delay_alu instid0(VALU_DEP_4) | instskip(NEXT) | instid1(VALU_DEP_1)
	v_dual_cndmask_b32 v11, v21, v19, vcc_lo :: v_dual_cndmask_b32 v17, v20, v18, vcc_lo
	v_dual_cndmask_b32 v11, v15, v11, s2 :: v_dual_bitop2_b32 v16, s4, v16 bitop3:0x14
	s_delay_alu instid0(VALU_DEP_1) | instskip(NEXT) | instid1(VALU_DEP_2)
	v_dual_cndmask_b32 v14, v14, v17, s2 :: v_dual_mov_b32 v17, v16
	v_xor_b32_e32 v15, v11, v16
	s_delay_alu instid0(VALU_DEP_2) | instskip(NEXT) | instid1(VALU_DEP_1)
	v_xor_b32_e32 v14, v14, v16
	v_sub_nc_u64_e32 v[18:19], v[14:15], v[16:17]
                                        ; implicit-def: $vgpr16
                                        ; implicit-def: $vgpr14_vgpr15
.LBB2_29:                               ;   in Loop: Header=BB2_19 Depth=2
	s_and_not1_saveexec_b32 s2, s3
	s_cbranch_execz .LBB2_31
; %bb.30:                               ;   in Loop: Header=BB2_19 Depth=2
	v_rcp_iflag_f32_e32 v11, v16
	s_sub_co_i32 s3, 0, s16
	v_nop
	s_delay_alu instid0(TRANS32_DEP_1) | instskip(NEXT) | instid1(VALU_DEP_1)
	v_mul_f32_e32 v11, 0x4f7ffffe, v11
	v_cvt_u32_f32_e32 v11, v11
	s_delay_alu instid0(VALU_DEP_1) | instskip(NEXT) | instid1(VALU_DEP_1)
	v_mul_lo_u32 v15, s3, v11
	v_mul_hi_u32 v15, v11, v15
	s_delay_alu instid0(VALU_DEP_1) | instskip(NEXT) | instid1(VALU_DEP_1)
	v_add_nc_u32_e32 v11, v11, v15
	v_mul_hi_u32 v11, v14, v11
	s_delay_alu instid0(VALU_DEP_1) | instskip(NEXT) | instid1(VALU_DEP_1)
	v_mul_lo_u32 v15, v11, s16
	v_sub_nc_u32_e32 v14, v14, v15
	v_add_nc_u32_e32 v15, 1, v11
	s_delay_alu instid0(VALU_DEP_2) | instskip(SKIP_1) | instid1(VALU_DEP_2)
	v_subrev_nc_u32_e32 v16, s16, v14
	v_cmp_le_u32_e32 vcc_lo, s16, v14
	v_dual_cndmask_b32 v14, v14, v16 :: v_dual_cndmask_b32 v11, v11, v15
	s_delay_alu instid0(VALU_DEP_1) | instskip(NEXT) | instid1(VALU_DEP_2)
	v_cmp_le_u32_e32 vcc_lo, s16, v14
	v_add_nc_u32_e32 v15, 1, v11
	s_delay_alu instid0(VALU_DEP_1)
	v_cndmask_b32_e32 v18, v11, v15, vcc_lo
.LBB2_31:                               ;   in Loop: Header=BB2_19 Depth=2
	s_or_b32 exec_lo, exec_lo, s2
	v_mad_nc_u64_u32 v[20:21], v10, s18, v[12:13]
	s_delay_alu instid0(VALU_DEP_1)
	v_dual_mov_b32 v13, 0xfffffc00 :: v_dual_add_nc_u32 v14, v3, v20
	s_and_saveexec_b32 s5, s1
	s_cbranch_execz .LBB2_18
; %bb.32:                               ;   in Loop: Header=BB2_19 Depth=2
	v_mad_nc_u64_u32 v[16:17], s30, v20, v[4:5]
	v_sub_nc_u32_e32 v13, v18, v20
	s_mov_b32 s7, 0
	s_mov_b32 s36, 0
	s_delay_alu instid0(VALU_DEP_2) | instskip(SKIP_3) | instid1(VALU_DEP_3)
	v_mad_u32 v11, s31, v20, v17
	v_dual_ashrrev_i32 v17, 31, v20 :: v_dual_add_nc_u32 v10, v26, v10
	v_add_nc_u32_e32 v15, 1, v13
	v_mov_b32_e32 v13, 0xfffffc00
	v_mad_u32 v12, s9, v10, v12
	s_delay_alu instid0(VALU_DEP_3)
	v_cmp_lt_i32_e32 vcc_lo, 0, v15
	v_mad_u32 v17, s30, v17, v11
	s_branch .LBB2_34
.LBB2_33:                               ;   in Loop: Header=BB2_34 Depth=3
	s_or_b32 exec_lo, exec_lo, s37
	s_add_co_i32 s36, s36, 1
	s_delay_alu instid0(VALU_DEP_1) | instskip(SKIP_1) | instid1(VALU_DEP_3)
	v_add_nc_u64_e32 v[16:17], s[26:27], v[16:17]
	v_cmp_ge_i32_e64 s2, s36, v25
	v_add_nc_u32_e32 v12, s9, v12
	s_or_b32 s7, s2, s7
	s_delay_alu instid0(SALU_CYCLE_1)
	s_and_not1_b32 exec_lo, exec_lo, s7
	s_cbranch_execz .LBB2_17
.LBB2_34:                               ;   Parent Loop BB2_3 Depth=1
                                        ;     Parent Loop BB2_19 Depth=2
                                        ; =>    This Loop Header: Depth=3
                                        ;         Child Loop BB2_36 Depth 4
	s_and_saveexec_b32 s37, vcc_lo
	s_cbranch_execz .LBB2_33
; %bb.35:                               ;   in Loop: Header=BB2_34 Depth=3
	s_delay_alu instid0(VALU_DEP_1)
	v_mov_b64_e32 v[10:11], v[16:17]
	s_mov_b32 s43, 0
	s_mov_b32 s44, 0
.LBB2_36:                               ;   Parent Loop BB2_3 Depth=1
                                        ;     Parent Loop BB2_19 Depth=2
                                        ;       Parent Loop BB2_34 Depth=3
                                        ; =>      This Inner Loop Header: Depth=4
	global_load_u16 v18, v[10:11], off
	s_wait_xcnt 0x0
	v_add_nc_u64_e32 v[10:11], s[30:31], v[10:11]
	s_wait_loadcnt 0x0
	v_cmp_gt_f16_e64 s2, v18, v13
	v_cmp_u_f16_e64 s3, v18, v18
	s_or_b32 s2, s2, s3
	s_delay_alu instid0(SALU_CYCLE_1) | instskip(SKIP_1) | instid1(SALU_CYCLE_1)
	v_dual_add_nc_u32 v19, s44, v12 :: v_dual_cndmask_b32 v13, v13, v18, s2
	s_add_co_i32 s44, s44, 1
	v_cmp_ge_i32_e64 s4, s44, v15
	s_delay_alu instid0(VALU_DEP_2) | instskip(SKIP_1) | instid1(SALU_CYCLE_1)
	v_cndmask_b32_e64 v14, v14, v19, s2
	s_or_b32 s43, s4, s43
	s_and_not1_b32 exec_lo, exec_lo, s43
	s_cbranch_execnz .LBB2_36
; %bb.37:                               ;   in Loop: Header=BB2_34 Depth=3
	s_or_b32 exec_lo, exec_lo, s43
	s_branch .LBB2_33
.LBB2_38:
	s_endpgm
	.section	.rodata,"a",@progbits
	.p2align	6, 0x0
	.amdhsa_kernel _ZN2at6native12_GLOBAL__N_115adaptivemaxpoolIN3c104HalfEEEvPKT_PS5_Pliiiilll
		.amdhsa_group_segment_fixed_size 0
		.amdhsa_private_segment_fixed_size 0
		.amdhsa_kernarg_size 320
		.amdhsa_user_sgpr_count 2
		.amdhsa_user_sgpr_dispatch_ptr 0
		.amdhsa_user_sgpr_queue_ptr 0
		.amdhsa_user_sgpr_kernarg_segment_ptr 1
		.amdhsa_user_sgpr_dispatch_id 0
		.amdhsa_user_sgpr_kernarg_preload_length 0
		.amdhsa_user_sgpr_kernarg_preload_offset 0
		.amdhsa_user_sgpr_private_segment_size 0
		.amdhsa_wavefront_size32 1
		.amdhsa_uses_dynamic_stack 0
		.amdhsa_enable_private_segment 0
		.amdhsa_system_sgpr_workgroup_id_x 1
		.amdhsa_system_sgpr_workgroup_id_y 1
		.amdhsa_system_sgpr_workgroup_id_z 0
		.amdhsa_system_sgpr_workgroup_info 0
		.amdhsa_system_vgpr_workitem_id 1
		.amdhsa_next_free_vgpr 34
		.amdhsa_next_free_sgpr 56
		.amdhsa_named_barrier_count 0
		.amdhsa_reserve_vcc 1
		.amdhsa_float_round_mode_32 0
		.amdhsa_float_round_mode_16_64 0
		.amdhsa_float_denorm_mode_32 3
		.amdhsa_float_denorm_mode_16_64 3
		.amdhsa_fp16_overflow 0
		.amdhsa_memory_ordered 1
		.amdhsa_forward_progress 1
		.amdhsa_inst_pref_size 39
		.amdhsa_round_robin_scheduling 0
		.amdhsa_exception_fp_ieee_invalid_op 0
		.amdhsa_exception_fp_denorm_src 0
		.amdhsa_exception_fp_ieee_div_zero 0
		.amdhsa_exception_fp_ieee_overflow 0
		.amdhsa_exception_fp_ieee_underflow 0
		.amdhsa_exception_fp_ieee_inexact 0
		.amdhsa_exception_int_div_zero 0
	.end_amdhsa_kernel
	.section	.text._ZN2at6native12_GLOBAL__N_115adaptivemaxpoolIN3c104HalfEEEvPKT_PS5_Pliiiilll,"axG",@progbits,_ZN2at6native12_GLOBAL__N_115adaptivemaxpoolIN3c104HalfEEEvPKT_PS5_Pliiiilll,comdat
.Lfunc_end2:
	.size	_ZN2at6native12_GLOBAL__N_115adaptivemaxpoolIN3c104HalfEEEvPKT_PS5_Pliiiilll, .Lfunc_end2-_ZN2at6native12_GLOBAL__N_115adaptivemaxpoolIN3c104HalfEEEvPKT_PS5_Pliiiilll
                                        ; -- End function
	.set _ZN2at6native12_GLOBAL__N_115adaptivemaxpoolIN3c104HalfEEEvPKT_PS5_Pliiiilll.num_vgpr, 34
	.set _ZN2at6native12_GLOBAL__N_115adaptivemaxpoolIN3c104HalfEEEvPKT_PS5_Pliiiilll.num_agpr, 0
	.set _ZN2at6native12_GLOBAL__N_115adaptivemaxpoolIN3c104HalfEEEvPKT_PS5_Pliiiilll.numbered_sgpr, 56
	.set _ZN2at6native12_GLOBAL__N_115adaptivemaxpoolIN3c104HalfEEEvPKT_PS5_Pliiiilll.num_named_barrier, 0
	.set _ZN2at6native12_GLOBAL__N_115adaptivemaxpoolIN3c104HalfEEEvPKT_PS5_Pliiiilll.private_seg_size, 0
	.set _ZN2at6native12_GLOBAL__N_115adaptivemaxpoolIN3c104HalfEEEvPKT_PS5_Pliiiilll.uses_vcc, 1
	.set _ZN2at6native12_GLOBAL__N_115adaptivemaxpoolIN3c104HalfEEEvPKT_PS5_Pliiiilll.uses_flat_scratch, 0
	.set _ZN2at6native12_GLOBAL__N_115adaptivemaxpoolIN3c104HalfEEEvPKT_PS5_Pliiiilll.has_dyn_sized_stack, 0
	.set _ZN2at6native12_GLOBAL__N_115adaptivemaxpoolIN3c104HalfEEEvPKT_PS5_Pliiiilll.has_recursion, 0
	.set _ZN2at6native12_GLOBAL__N_115adaptivemaxpoolIN3c104HalfEEEvPKT_PS5_Pliiiilll.has_indirect_call, 0
	.section	.AMDGPU.csdata,"",@progbits
; Kernel info:
; codeLenInByte = 4964
; TotalNumSgprs: 58
; NumVgprs: 34
; ScratchSize: 0
; MemoryBound: 0
; FloatMode: 240
; IeeeMode: 1
; LDSByteSize: 0 bytes/workgroup (compile time only)
; SGPRBlocks: 0
; VGPRBlocks: 2
; NumSGPRsForWavesPerEU: 58
; NumVGPRsForWavesPerEU: 34
; NamedBarCnt: 0
; Occupancy: 16
; WaveLimiterHint : 0
; COMPUTE_PGM_RSRC2:SCRATCH_EN: 0
; COMPUTE_PGM_RSRC2:USER_SGPR: 2
; COMPUTE_PGM_RSRC2:TRAP_HANDLER: 0
; COMPUTE_PGM_RSRC2:TGID_X_EN: 1
; COMPUTE_PGM_RSRC2:TGID_Y_EN: 1
; COMPUTE_PGM_RSRC2:TGID_Z_EN: 0
; COMPUTE_PGM_RSRC2:TIDIG_COMP_CNT: 1
	.section	.text._ZN2at6native12_GLOBAL__N_115adaptivemaxpoolIN3c108BFloat16EEEvPKT_PS5_Pliiiilll,"axG",@progbits,_ZN2at6native12_GLOBAL__N_115adaptivemaxpoolIN3c108BFloat16EEEvPKT_PS5_Pliiiilll,comdat
	.globl	_ZN2at6native12_GLOBAL__N_115adaptivemaxpoolIN3c108BFloat16EEEvPKT_PS5_Pliiiilll ; -- Begin function _ZN2at6native12_GLOBAL__N_115adaptivemaxpoolIN3c108BFloat16EEEvPKT_PS5_Pliiiilll
	.p2align	8
	.type	_ZN2at6native12_GLOBAL__N_115adaptivemaxpoolIN3c108BFloat16EEEvPKT_PS5_Pliiiilll,@function
_ZN2at6native12_GLOBAL__N_115adaptivemaxpoolIN3c108BFloat16EEEvPKT_PS5_Pliiiilll: ; @_ZN2at6native12_GLOBAL__N_115adaptivemaxpoolIN3c108BFloat16EEEvPKT_PS5_Pliiiilll
; %bb.0:
	s_clause 0x1
	s_load_b32 s3, s[0:1], 0x4c
	s_load_b128 s[8:11], s[0:1], 0x18
	s_bfe_u32 s2, ttmp6, 0x40010
	s_bfe_u32 s5, ttmp6, 0x40004
	s_add_co_i32 s2, s2, 1
	s_getreg_b32 s4, hwreg(HW_REG_IB_STS2, 6, 4)
	s_mul_i32 s2, ttmp7, s2
	v_bfe_u32 v1, v0, 10, 10
	s_add_co_i32 s5, s5, s2
	s_mov_b32 s6, 0
	s_wait_kmcnt 0x0
	s_lshr_b32 s2, s3, 16
	s_cmp_eq_u32 s4, 0
	s_cselect_b32 s5, ttmp7, s5
	s_delay_alu instid0(SALU_CYCLE_1) | instskip(SKIP_1) | instid1(VALU_DEP_1)
	v_mad_u32 v2, s5, s2, v1
	s_mov_b32 s5, exec_lo
	v_cmpx_gt_i32_e64 s10, v2
	s_cbranch_execz .LBB3_38
; %bb.1:
	s_bfe_u32 s5, ttmp6, 0x4000c
	s_and_b32 s7, ttmp6, 15
	s_add_co_i32 s5, s5, 1
	s_and_b32 s33, s3, 0xffff
	s_mul_i32 s5, ttmp9, s5
	s_mov_b32 s12, s10
	s_add_co_i32 s7, s7, s5
	s_cmp_eq_u32 s4, 0
	v_cvt_f32_u32_e32 v1, s12
	s_cselect_b32 s4, ttmp9, s7
	s_ashr_i32 s38, s10, 31
	v_and_b32_e32 v22, 0x3ff, v0
	s_add_co_i32 s3, s10, s38
	v_rcp_iflag_f32_e32 v1, v1
	s_xor_b32 s39, s3, s38
	s_add_nc_u64 s[22:23], s[0:1], 64
	v_cvt_f32_u32_e32 v3, s39
	s_clause 0x3
	s_load_b128 s[28:31], s[0:1], 0x0
	s_load_b64 s[24:25], s[0:1], 0x10
	s_load_b128 s[40:43], s[0:1], 0x28
	s_load_b64 s[34:35], s[0:1], 0x38
	s_wait_xcnt 0x0
	s_sub_co_i32 s0, 0, s39
	s_sub_co_i32 s3, 0, s10
	v_rcp_iflag_f32_e32 v3, v3
	s_load_b32 s1, s[22:23], 0x4
	s_ashr_i32 s5, s4, 31
	s_ashr_i32 s13, s10, 31
	s_mov_b32 s14, s8
	s_mov_b32 s16, s11
	;; [unrolled: 1-line block ×3, first 2 shown]
	v_nop
	v_dual_mul_f32 v0, 0x4f7ffffe, v3 :: v_dual_mul_f32 v3, 0x4f7ffffe, v1
	s_mov_b64 s[20:21], 0xffffffff
	s_ashr_i32 s15, s8, 31
	s_ashr_i32 s17, s11, 31
	s_delay_alu instid0(VALU_DEP_1) | instskip(SKIP_2) | instid1(VALU_DEP_2)
	v_cvt_u32_f32_e32 v0, v0
	v_cvt_u32_f32_e32 v3, v3
	s_ashr_i32 s19, s9, 31
	v_mul_lo_u32 v4, s0, v0
	s_delay_alu instid0(VALU_DEP_2)
	v_mul_lo_u32 v5, s3, v3
	s_mul_i32 s3, s10, s4
	s_wait_kmcnt 0x0
	s_mul_u64 s[4:5], s[40:41], s[4:5]
	s_mul_i32 s22, s3, s11
	v_cmp_gt_i32_e64 s0, s11, v22
	s_ashr_i32 s23, s22, 31
	s_lshl_b64 s[4:5], s[4:5], 1
	s_lshl_b64 s[26:27], s[22:23], 1
	;; [unrolled: 1-line block ×3, first 2 shown]
	s_add_nc_u64 s[22:23], s[30:31], s[26:27]
	v_mul_hi_u32 v4, v0, v4
	v_mul_hi_u32 v5, v3, v5
	v_mov_b32_e32 v1, 0
	s_add_nc_u64 s[24:25], s[24:25], s[36:37]
	s_lshl_b64 s[26:27], s[42:43], 1
	s_mul_i32 s40, s1, s2
	s_add_nc_u64 s[28:29], s[28:29], s[4:5]
	s_lshl_b64 s[30:31], s[34:35], 1
	s_ashr_i32 s34, s13, 31
	s_mov_b32 s41, 0
	s_delay_alu instid0(VALU_DEP_2)
	v_dual_add_nc_u32 v23, v0, v4 :: v_dual_add_nc_u32 v24, v3, v5
	s_branch .LBB3_3
.LBB3_2:                                ;   in Loop: Header=BB3_3 Depth=1
	s_or_b32 exec_lo, exec_lo, s35
	v_add_nc_u32_e32 v2, s40, v2
	s_delay_alu instid0(VALU_DEP_1) | instskip(SKIP_1) | instid1(SALU_CYCLE_1)
	v_cmp_le_i32_e32 vcc_lo, s10, v2
	s_or_b32 s41, vcc_lo, s41
	s_and_not1_b32 exec_lo, exec_lo, s41
	s_cbranch_execz .LBB3_38
.LBB3_3:                                ; =>This Loop Header: Depth=1
                                        ;     Child Loop BB3_19 Depth 2
                                        ;       Child Loop BB3_34 Depth 3
                                        ;         Child Loop BB3_36 Depth 4
	v_dual_mov_b32 v4, v1 :: v_dual_ashrrev_i32 v3, 31, v2
	s_mov_b32 s1, exec_lo
                                        ; implicit-def: $vgpr6_vgpr7
	s_delay_alu instid0(VALU_DEP_1) | instskip(NEXT) | instid1(VALU_DEP_1)
	v_or_b32_e32 v5, s13, v3
	v_cmpx_ne_u64_e32 0, v[4:5]
	s_xor_b32 s1, exec_lo, s1
	s_cbranch_execz .LBB3_5
; %bb.4:                                ;   in Loop: Header=BB3_3 Depth=1
	v_ashrrev_i32_e32 v0, 31, v2
	s_delay_alu instid0(VALU_DEP_1) | instskip(NEXT) | instid1(VALU_DEP_1)
	v_add_nc_u32_e32 v4, v2, v0
	v_xor_b32_e32 v4, v4, v0
	s_delay_alu instid0(VALU_DEP_1) | instskip(NEXT) | instid1(VALU_DEP_1)
	v_mul_hi_u32 v5, v4, v23
	v_mul_lo_u32 v6, v5, s39
	s_delay_alu instid0(VALU_DEP_1) | instskip(SKIP_1) | instid1(VALU_DEP_2)
	v_dual_sub_nc_u32 v4, v4, v6 :: v_dual_add_nc_u32 v6, 1, v5
	v_xor_b32_e32 v0, s38, v0
	v_subrev_nc_u32_e32 v7, s39, v4
	v_cmp_le_u32_e32 vcc_lo, s39, v4
	s_delay_alu instid0(VALU_DEP_2) | instskip(NEXT) | instid1(VALU_DEP_1)
	v_dual_cndmask_b32 v4, v4, v7 :: v_dual_cndmask_b32 v5, v5, v6
	v_cmp_le_u32_e32 vcc_lo, s39, v4
	s_delay_alu instid0(VALU_DEP_2) | instskip(NEXT) | instid1(VALU_DEP_1)
	v_add_nc_u32_e32 v6, 1, v5
	v_cndmask_b32_e32 v4, v5, v6, vcc_lo
	s_delay_alu instid0(VALU_DEP_1) | instskip(NEXT) | instid1(VALU_DEP_1)
	v_xor_b32_e32 v4, v4, v0
	v_sub_nc_u32_e32 v6, v4, v0
	s_delay_alu instid0(VALU_DEP_1)
	v_ashrrev_i32_e32 v7, 31, v6
.LBB3_5:                                ;   in Loop: Header=BB3_3 Depth=1
	s_and_not1_saveexec_b32 s1, s1
	s_cbranch_execz .LBB3_7
; %bb.6:                                ;   in Loop: Header=BB3_3 Depth=1
	v_mul_hi_u32 v0, v2, v24
	s_delay_alu instid0(VALU_DEP_1) | instskip(SKIP_1) | instid1(VALU_DEP_2)
	v_mul_lo_u32 v4, v0, s12
	v_add_nc_u32_e32 v5, 1, v0
	v_sub_nc_u32_e32 v4, v2, v4
	s_delay_alu instid0(VALU_DEP_1) | instskip(NEXT) | instid1(VALU_DEP_3)
	v_cmp_le_u32_e32 vcc_lo, s12, v4
	v_cndmask_b32_e32 v0, v0, v5, vcc_lo
	v_subrev_nc_u32_e32 v6, s12, v4
	s_delay_alu instid0(VALU_DEP_1) | instskip(NEXT) | instid1(VALU_DEP_1)
	v_dual_cndmask_b32 v4, v4, v6 :: v_dual_add_nc_u32 v5, 1, v0
	v_cmp_le_u32_e32 vcc_lo, s12, v4
	s_delay_alu instid0(VALU_DEP_2) | instskip(NEXT) | instid1(VALU_DEP_1)
	v_cndmask_b32_e32 v0, v0, v5, vcc_lo
	v_mov_b64_e32 v[6:7], v[0:1]
.LBB3_7:                                ;   in Loop: Header=BB3_3 Depth=1
	s_or_b32 exec_lo, exec_lo, s1
	s_delay_alu instid0(VALU_DEP_1) | instskip(SKIP_1) | instid1(VALU_DEP_2)
	v_mul_u64_e32 v[4:5], s[12:13], v[6:7]
	v_mov_b32_e32 v8, v1
	v_sub_nc_u64_e32 v[4:5], v[2:3], v[4:5]
	s_delay_alu instid0(VALU_DEP_1) | instskip(NEXT) | instid1(VALU_DEP_1)
	v_mul_u64_e32 v[4:5], s[14:15], v[4:5]
	v_or_b32_e32 v9, s13, v5
	s_delay_alu instid0(VALU_DEP_1) | instskip(SKIP_1) | instid1(SALU_CYCLE_1)
	v_cmp_ne_u64_e32 vcc_lo, 0, v[8:9]
                                        ; implicit-def: $vgpr8_vgpr9
	s_and_saveexec_b32 s1, vcc_lo
	s_xor_b32 s4, exec_lo, s1
	s_cbranch_execz .LBB3_9
; %bb.8:                                ;   in Loop: Header=BB3_3 Depth=1
	s_mov_b32 s35, s34
	s_mov_b32 s45, s6
	s_add_nc_u64 s[2:3], s[12:13], s[34:35]
	s_mov_b32 s49, s6
	s_xor_b64 s[2:3], s[2:3], s[34:35]
	v_dual_mov_b32 v13, v1 :: v_dual_ashrrev_i32 v8, 31, v5
	s_cvt_f32_u32 s1, s2
	s_cvt_f32_u32 s5, s3
	s_sub_nc_u64 s[42:43], 0, s[2:3]
	s_delay_alu instid0(VALU_DEP_1) | instskip(NEXT) | instid1(SALU_CYCLE_1)
	v_dual_mov_b32 v9, v8 :: v_dual_mov_b32 v17, v1
	s_fmamk_f32 s1, s5, 0x4f800000, s1
	s_delay_alu instid0(VALU_DEP_1) | instskip(NEXT) | instid1(SALU_CYCLE_2)
	v_add_nc_u64_e32 v[4:5], v[4:5], v[8:9]
	v_s_rcp_f32 s1, s1
	s_delay_alu instid0(VALU_DEP_1) | instskip(NEXT) | instid1(VALU_DEP_2)
	v_xor_b32_e32 v0, v4, v8
	v_xor_b32_e32 v12, v5, v8
	s_delay_alu instid0(TRANS32_DEP_1) | instskip(SKIP_1) | instid1(SALU_CYCLE_2)
	s_mul_f32 s1, s1, 0x5f7ffffc
	v_xor_b32_e32 v8, s34, v8
	s_mul_f32 s5, s1, 0x2f800000
	s_delay_alu instid0(SALU_CYCLE_3) | instskip(NEXT) | instid1(SALU_CYCLE_3)
	s_trunc_f32 s5, s5
	s_fmamk_f32 s1, s5, 0xcf800000, s1
	s_cvt_u32_f32 s37, s5
	s_delay_alu instid0(SALU_CYCLE_2) | instskip(NEXT) | instid1(SALU_CYCLE_3)
	s_cvt_u32_f32 s36, s1
	s_mul_u64 s[46:47], s[42:43], s[36:37]
	s_delay_alu instid0(SALU_CYCLE_1)
	s_mul_hi_u32 s51, s36, s47
	s_mul_i32 s50, s36, s47
	s_mul_hi_u32 s44, s36, s46
	s_mul_i32 s5, s37, s46
	s_add_nc_u64 s[44:45], s[44:45], s[50:51]
	s_mul_hi_u32 s1, s37, s46
	s_mul_hi_u32 s7, s37, s47
	s_add_co_u32 s5, s44, s5
	s_add_co_ci_u32 s48, s45, s1
	s_mul_i32 s46, s37, s47
	s_add_co_ci_u32 s47, s7, 0
	s_delay_alu instid0(SALU_CYCLE_1) | instskip(SKIP_3) | instid1(SALU_CYCLE_1)
	s_add_nc_u64 s[44:45], s[48:49], s[46:47]
	s_mov_b32 s47, s6
	s_add_co_u32 s36, s36, s44
	s_cselect_b32 s1, -1, 0
	s_cmp_lg_u32 s1, 0
	s_add_co_ci_u32 s37, s37, s45
	s_mov_b32 s45, s6
	s_mul_u64 s[42:43], s[42:43], s[36:37]
	s_delay_alu instid0(SALU_CYCLE_1)
	s_mul_hi_u32 s49, s36, s43
	s_mul_i32 s48, s36, s43
	s_mul_hi_u32 s46, s36, s42
	s_mul_i32 s5, s37, s42
	s_add_nc_u64 s[46:47], s[46:47], s[48:49]
	s_mul_hi_u32 s1, s37, s42
	s_mul_hi_u32 s7, s37, s43
	s_add_co_u32 s5, s46, s5
	s_add_co_ci_u32 s44, s47, s1
	s_mul_i32 s42, s37, s43
	s_add_co_ci_u32 s43, s7, 0
	s_delay_alu instid0(SALU_CYCLE_1) | instskip(NEXT) | instid1(SALU_CYCLE_1)
	s_add_nc_u64 s[42:43], s[44:45], s[42:43]
	s_add_co_u32 s36, s36, s42
	s_cselect_b32 s1, -1, 0
	v_mul_hi_u32 v16, v0, s36
	s_cmp_lg_u32 s1, 0
	s_add_co_ci_u32 s44, s37, s43
	s_and_b64 s[42:43], s[36:37], s[20:21]
	v_mul_u64_e32 v[10:11], s[44:45], v[0:1]
	v_mul_u64_e32 v[4:5], s[42:43], v[12:13]
	;; [unrolled: 1-line block ×3, first 2 shown]
	s_delay_alu instid0(VALU_DEP_3) | instskip(NEXT) | instid1(VALU_DEP_1)
	v_add_nc_u64_e32 v[10:11], v[16:17], v[10:11]
	v_add_co_u32 v4, vcc_lo, v10, v4
	s_delay_alu instid0(VALU_DEP_2) | instskip(NEXT) | instid1(VALU_DEP_4)
	v_add_co_ci_u32_e32 v16, vcc_lo, v11, v5, vcc_lo
	v_add_co_ci_u32_e32 v15, vcc_lo, 0, v15, vcc_lo
	s_delay_alu instid0(VALU_DEP_1) | instskip(NEXT) | instid1(VALU_DEP_1)
	v_add_nc_u64_e32 v[4:5], v[16:17], v[14:15]
	v_mul_u64_e32 v[10:11], s[2:3], v[4:5]
	s_delay_alu instid0(VALU_DEP_1) | instskip(NEXT) | instid1(VALU_DEP_2)
	v_sub_nc_u32_e32 v7, v12, v11
	v_sub_co_u32 v0, vcc_lo, v0, v10
	s_delay_alu instid0(VALU_DEP_1) | instskip(NEXT) | instid1(VALU_DEP_3)
	v_sub_co_ci_u32_e64 v14, null, v12, v11, vcc_lo
	v_subrev_co_ci_u32_e64 v7, null, s3, v7, vcc_lo
	s_delay_alu instid0(VALU_DEP_3) | instskip(SKIP_1) | instid1(VALU_DEP_3)
	v_sub_co_u32 v9, s1, v0, s2
	v_add_nc_u64_e32 v[12:13], 1, v[4:5]
	v_subrev_co_ci_u32_e64 v7, null, 0, v7, s1
	s_delay_alu instid0(VALU_DEP_3) | instskip(SKIP_1) | instid1(VALU_DEP_3)
	v_cmp_le_u32_e32 vcc_lo, s2, v9
	v_cndmask_b32_e64 v9, 0, -1, vcc_lo
	v_cmp_le_u32_e32 vcc_lo, s3, v7
	v_cndmask_b32_e64 v10, 0, -1, vcc_lo
	;; [unrolled: 2-line block ×4, first 2 shown]
	v_cmp_eq_u32_e32 vcc_lo, s3, v7
	v_cndmask_b32_e32 v7, v10, v9, vcc_lo
	v_cmp_eq_u32_e32 vcc_lo, s3, v14
	v_add_nc_u64_e32 v[10:11], 2, v[4:5]
	v_cndmask_b32_e32 v0, v15, v0, vcc_lo
	s_delay_alu instid0(VALU_DEP_4) | instskip(NEXT) | instid1(VALU_DEP_2)
	v_cmp_ne_u32_e32 vcc_lo, 0, v7
	v_cmp_ne_u32_e64 s1, 0, v0
	s_delay_alu instid0(VALU_DEP_4) | instskip(NEXT) | instid1(VALU_DEP_1)
	v_dual_cndmask_b32 v7, v13, v11 :: v_dual_cndmask_b32 v0, v12, v10
	v_dual_cndmask_b32 v5, v5, v7, s1 :: v_dual_cndmask_b32 v0, v4, v0, s1
	s_delay_alu instid0(VALU_DEP_1) | instskip(NEXT) | instid1(VALU_DEP_2)
	v_dual_mov_b32 v9, v8 :: v_dual_bitop2_b32 v5, v5, v8 bitop3:0x14
	v_xor_b32_e32 v4, v0, v8
	s_delay_alu instid0(VALU_DEP_1)
	v_sub_nc_u64_e32 v[8:9], v[4:5], v[8:9]
                                        ; implicit-def: $vgpr4_vgpr5
.LBB3_9:                                ;   in Loop: Header=BB3_3 Depth=1
	s_and_not1_saveexec_b32 s1, s4
	s_cbranch_execz .LBB3_11
; %bb.10:                               ;   in Loop: Header=BB3_3 Depth=1
	s_delay_alu instid0(VALU_DEP_3) | instskip(NEXT) | instid1(VALU_DEP_1)
	v_mul_hi_u32 v0, v4, v24
	v_mul_lo_u32 v5, v0, s12
	s_delay_alu instid0(VALU_DEP_1) | instskip(NEXT) | instid1(VALU_DEP_1)
	v_dual_sub_nc_u32 v4, v4, v5 :: v_dual_add_nc_u32 v5, 1, v0
	v_subrev_nc_u32_e32 v7, s12, v4
	v_cmp_le_u32_e32 vcc_lo, s12, v4
	s_delay_alu instid0(VALU_DEP_3) | instskip(NEXT) | instid1(VALU_DEP_1)
	v_cndmask_b32_e32 v0, v0, v5, vcc_lo
	v_dual_cndmask_b32 v4, v4, v7 :: v_dual_add_nc_u32 v5, 1, v0
	s_delay_alu instid0(VALU_DEP_1) | instskip(NEXT) | instid1(VALU_DEP_2)
	v_cmp_le_u32_e32 vcc_lo, s12, v4
	v_cndmask_b32_e32 v0, v0, v5, vcc_lo
	s_delay_alu instid0(VALU_DEP_1)
	v_mov_b64_e32 v[8:9], v[0:1]
.LBB3_11:                               ;   in Loop: Header=BB3_3 Depth=1
	s_or_b32 exec_lo, exec_lo, s1
	v_add_nc_u64_e32 v[10:11], 1, v[2:3]
	s_delay_alu instid0(VALU_DEP_1) | instskip(NEXT) | instid1(VALU_DEP_1)
	v_mad_nc_u64_u32 v[4:5], v10, s14, -1
	v_mad_u32 v0, v11, s14, v5
	s_delay_alu instid0(VALU_DEP_1) | instskip(NEXT) | instid1(VALU_DEP_1)
	v_mad_u32 v5, v10, s15, v0
	v_dual_mov_b32 v10, v1 :: v_dual_bitop2_b32 v11, s13, v5 bitop3:0x54
	s_delay_alu instid0(VALU_DEP_1) | instskip(SKIP_1) | instid1(SALU_CYCLE_1)
	v_cmp_ne_u64_e32 vcc_lo, 0, v[10:11]
                                        ; implicit-def: $vgpr10_vgpr11
	s_and_saveexec_b32 s1, vcc_lo
	s_xor_b32 s4, exec_lo, s1
	s_cbranch_execnz .LBB3_14
; %bb.12:                               ;   in Loop: Header=BB3_3 Depth=1
	s_and_not1_saveexec_b32 s1, s4
	s_cbranch_execnz .LBB3_15
.LBB3_13:                               ;   in Loop: Header=BB3_3 Depth=1
	s_or_b32 exec_lo, exec_lo, s1
	s_and_saveexec_b32 s35, s0
	s_cbranch_execz .LBB3_2
	s_branch .LBB3_16
.LBB3_14:                               ;   in Loop: Header=BB3_3 Depth=1
	s_mov_b32 s35, s34
	s_mov_b32 s45, s6
	s_add_nc_u64 s[2:3], s[12:13], s[34:35]
	s_mov_b32 s49, s6
	s_xor_b64 s[2:3], s[2:3], s[34:35]
	v_dual_mov_b32 v15, v1 :: v_dual_ashrrev_i32 v10, 31, v5
	s_cvt_f32_u32 s1, s2
	s_cvt_f32_u32 s5, s3
	s_sub_nc_u64 s[42:43], 0, s[2:3]
	s_delay_alu instid0(VALU_DEP_1) | instskip(NEXT) | instid1(SALU_CYCLE_1)
	v_mov_b32_e32 v11, v10
	s_fmamk_f32 s1, s5, 0x4f800000, s1
	s_delay_alu instid0(VALU_DEP_1) | instskip(NEXT) | instid1(SALU_CYCLE_2)
	v_add_nc_u64_e32 v[4:5], v[4:5], v[10:11]
	v_s_rcp_f32 s1, s1
	s_delay_alu instid0(VALU_DEP_1) | instskip(NEXT) | instid1(VALU_DEP_2)
	v_xor_b32_e32 v0, v4, v10
	v_xor_b32_e32 v14, v5, v10
	s_delay_alu instid0(TRANS32_DEP_1) | instskip(SKIP_1) | instid1(SALU_CYCLE_2)
	s_mul_f32 s1, s1, 0x5f7ffffc
	v_dual_mov_b32 v19, v1 :: v_dual_bitop2_b32 v10, s34, v10 bitop3:0x14
	s_mul_f32 s5, s1, 0x2f800000
	s_delay_alu instid0(SALU_CYCLE_3) | instskip(NEXT) | instid1(SALU_CYCLE_3)
	s_trunc_f32 s5, s5
	s_fmamk_f32 s1, s5, 0xcf800000, s1
	s_cvt_u32_f32 s37, s5
	s_delay_alu instid0(SALU_CYCLE_2) | instskip(NEXT) | instid1(SALU_CYCLE_3)
	s_cvt_u32_f32 s36, s1
	s_mul_u64 s[46:47], s[42:43], s[36:37]
	s_delay_alu instid0(SALU_CYCLE_1)
	s_mul_hi_u32 s51, s36, s47
	s_mul_i32 s50, s36, s47
	s_mul_hi_u32 s44, s36, s46
	s_mul_i32 s5, s37, s46
	s_add_nc_u64 s[44:45], s[44:45], s[50:51]
	s_mul_hi_u32 s1, s37, s46
	s_mul_hi_u32 s7, s37, s47
	s_add_co_u32 s5, s44, s5
	s_add_co_ci_u32 s48, s45, s1
	s_mul_i32 s46, s37, s47
	s_add_co_ci_u32 s47, s7, 0
	s_delay_alu instid0(SALU_CYCLE_1) | instskip(SKIP_3) | instid1(SALU_CYCLE_1)
	s_add_nc_u64 s[44:45], s[48:49], s[46:47]
	s_mov_b32 s47, s6
	s_add_co_u32 s36, s36, s44
	s_cselect_b32 s1, -1, 0
	s_cmp_lg_u32 s1, 0
	s_add_co_ci_u32 s37, s37, s45
	s_mov_b32 s45, s6
	s_mul_u64 s[42:43], s[42:43], s[36:37]
	s_delay_alu instid0(SALU_CYCLE_1)
	s_mul_hi_u32 s49, s36, s43
	s_mul_i32 s48, s36, s43
	s_mul_hi_u32 s46, s36, s42
	s_mul_i32 s5, s37, s42
	s_add_nc_u64 s[46:47], s[46:47], s[48:49]
	s_mul_hi_u32 s1, s37, s42
	s_mul_hi_u32 s7, s37, s43
	s_add_co_u32 s5, s46, s5
	s_add_co_ci_u32 s44, s47, s1
	s_mul_i32 s42, s37, s43
	s_add_co_ci_u32 s43, s7, 0
	s_delay_alu instid0(SALU_CYCLE_1) | instskip(NEXT) | instid1(SALU_CYCLE_1)
	s_add_nc_u64 s[42:43], s[44:45], s[42:43]
	s_add_co_u32 s36, s36, s42
	s_cselect_b32 s1, -1, 0
	v_mul_hi_u32 v18, v0, s36
	s_cmp_lg_u32 s1, 0
	s_add_co_ci_u32 s44, s37, s43
	s_and_b64 s[42:43], s[36:37], s[20:21]
	v_mul_u64_e32 v[12:13], s[44:45], v[0:1]
	v_mul_u64_e32 v[4:5], s[42:43], v[14:15]
	;; [unrolled: 1-line block ×3, first 2 shown]
	s_delay_alu instid0(VALU_DEP_3) | instskip(NEXT) | instid1(VALU_DEP_1)
	v_add_nc_u64_e32 v[12:13], v[18:19], v[12:13]
	v_add_co_u32 v3, vcc_lo, v12, v4
	s_delay_alu instid0(VALU_DEP_2) | instskip(NEXT) | instid1(VALU_DEP_4)
	v_add_co_ci_u32_e32 v18, vcc_lo, v13, v5, vcc_lo
	v_add_co_ci_u32_e32 v17, vcc_lo, 0, v17, vcc_lo
	s_delay_alu instid0(VALU_DEP_1) | instskip(NEXT) | instid1(VALU_DEP_1)
	v_add_nc_u64_e32 v[4:5], v[18:19], v[16:17]
	v_mul_u64_e32 v[12:13], s[2:3], v[4:5]
	s_delay_alu instid0(VALU_DEP_1) | instskip(NEXT) | instid1(VALU_DEP_2)
	v_sub_nc_u32_e32 v3, v14, v13
	v_sub_co_u32 v0, vcc_lo, v0, v12
	s_delay_alu instid0(VALU_DEP_1) | instskip(NEXT) | instid1(VALU_DEP_3)
	v_sub_co_ci_u32_e64 v11, null, v14, v13, vcc_lo
	v_subrev_co_ci_u32_e64 v3, null, s3, v3, vcc_lo
	s_delay_alu instid0(VALU_DEP_3) | instskip(SKIP_1) | instid1(VALU_DEP_3)
	v_sub_co_u32 v7, s1, v0, s2
	v_add_nc_u64_e32 v[14:15], 1, v[4:5]
	v_subrev_co_ci_u32_e64 v3, null, 0, v3, s1
	s_delay_alu instid0(VALU_DEP_3) | instskip(SKIP_1) | instid1(VALU_DEP_3)
	v_cmp_le_u32_e32 vcc_lo, s2, v7
	v_cndmask_b32_e64 v7, 0, -1, vcc_lo
	v_cmp_le_u32_e32 vcc_lo, s3, v3
	v_cndmask_b32_e64 v12, 0, -1, vcc_lo
	;; [unrolled: 2-line block ×4, first 2 shown]
	v_cmp_eq_u32_e32 vcc_lo, s3, v3
	v_cndmask_b32_e32 v3, v12, v7, vcc_lo
	v_cmp_eq_u32_e32 vcc_lo, s3, v11
	v_add_nc_u64_e32 v[12:13], 2, v[4:5]
	v_cndmask_b32_e32 v0, v16, v0, vcc_lo
	s_delay_alu instid0(VALU_DEP_4) | instskip(NEXT) | instid1(VALU_DEP_3)
	v_cmp_ne_u32_e32 vcc_lo, 0, v3
	v_cndmask_b32_e32 v3, v15, v13, vcc_lo
	s_delay_alu instid0(VALU_DEP_3) | instskip(NEXT) | instid1(VALU_DEP_1)
	v_cmp_ne_u32_e64 s1, 0, v0
	v_dual_cndmask_b32 v0, v14, v12, vcc_lo :: v_dual_cndmask_b32 v3, v5, v3, s1
	s_delay_alu instid0(VALU_DEP_1) | instskip(NEXT) | instid1(VALU_DEP_2)
	v_dual_cndmask_b32 v0, v4, v0, s1 :: v_dual_mov_b32 v11, v10
	v_xor_b32_e32 v5, v3, v10
	s_delay_alu instid0(VALU_DEP_2) | instskip(NEXT) | instid1(VALU_DEP_1)
	v_xor_b32_e32 v4, v0, v10
	v_sub_nc_u64_e32 v[10:11], v[4:5], v[10:11]
                                        ; implicit-def: $vgpr4_vgpr5
	s_and_not1_saveexec_b32 s1, s4
	s_cbranch_execz .LBB3_13
.LBB3_15:                               ;   in Loop: Header=BB3_3 Depth=1
	v_mul_hi_u32 v0, v4, v24
	s_delay_alu instid0(VALU_DEP_1) | instskip(NEXT) | instid1(VALU_DEP_1)
	v_mul_lo_u32 v3, v0, s12
	v_dual_sub_nc_u32 v3, v4, v3 :: v_dual_add_nc_u32 v4, 1, v0
	s_delay_alu instid0(VALU_DEP_1) | instskip(SKIP_1) | instid1(VALU_DEP_2)
	v_subrev_nc_u32_e32 v5, s12, v3
	v_cmp_le_u32_e32 vcc_lo, s12, v3
	v_dual_cndmask_b32 v3, v3, v5 :: v_dual_cndmask_b32 v0, v0, v4
	s_delay_alu instid0(VALU_DEP_1) | instskip(NEXT) | instid1(VALU_DEP_2)
	v_cmp_le_u32_e32 vcc_lo, s12, v3
	v_add_nc_u32_e32 v4, 1, v0
	s_delay_alu instid0(VALU_DEP_1)
	v_cndmask_b32_e32 v10, v0, v4, vcc_lo
	s_or_b32 exec_lo, exec_lo, s1
	s_and_saveexec_b32 s35, s0
	s_cbranch_execz .LBB3_2
.LBB3_16:                               ;   in Loop: Header=BB3_3 Depth=1
	v_mad_nc_u64_u32 v[12:13], v6, s14, v[8:9]
	v_mul_lo_u32 v14, v2, s11
	v_mad_u32 v26, s8, v6, v8
	s_mov_b32 s42, 0
	s_delay_alu instid0(VALU_DEP_3) | instskip(SKIP_2) | instid1(VALU_DEP_3)
	v_mad_nc_u64_u32 v[4:5], s26, v12, s[28:29]
	v_mul_lo_u32 v3, s9, v12
	v_ashrrev_i32_e32 v7, 31, v12
	v_mad_u32 v0, s27, v12, v5
	v_dual_sub_nc_u32 v5, v10, v12 :: v_dual_ashrrev_i32 v15, 31, v14
	s_delay_alu instid0(VALU_DEP_1) | instskip(NEXT) | instid1(VALU_DEP_2)
	v_add_nc_u32_e32 v25, 1, v5
	v_lshl_add_u64 v[8:9], v[14:15], 3, s[24:25]
	s_delay_alu instid0(VALU_DEP_2)
	v_cmp_lt_i32_e64 s1, 0, v25
	v_mad_u32 v5, s26, v7, v0
	v_lshl_add_u64 v[6:7], v[14:15], 1, s[22:23]
	v_mov_b32_e32 v0, v22
	s_branch .LBB3_19
.LBB3_17:                               ;   in Loop: Header=BB3_19 Depth=2
	s_or_b32 exec_lo, exec_lo, s7
.LBB3_18:                               ;   in Loop: Header=BB3_19 Depth=2
	s_delay_alu instid0(SALU_CYCLE_1)
	s_or_b32 exec_lo, exec_lo, s5
	v_lshl_add_u64 v[10:11], v[0:1], 1, v[6:7]
	v_lshl_add_u64 v[16:17], v[0:1], 3, v[8:9]
	v_dual_add_nc_u32 v0, s33, v0 :: v_dual_ashrrev_i32 v15, 31, v14
	global_store_b16 v[10:11], v13, off
	global_store_b64 v[16:17], v[14:15], off
	v_cmp_le_i32_e32 vcc_lo, s11, v0
	s_or_b32 s42, vcc_lo, s42
	s_wait_xcnt 0x0
	s_and_not1_b32 exec_lo, exec_lo, s42
	s_cbranch_execz .LBB3_2
.LBB3_19:                               ;   Parent Loop BB3_3 Depth=1
                                        ; =>  This Loop Header: Depth=2
                                        ;       Child Loop BB3_34 Depth 3
                                        ;         Child Loop BB3_36 Depth 4
	s_mov_b32 s7, s17
                                        ; implicit-def: $vgpr10_vgpr11
	s_delay_alu instid0(SALU_CYCLE_1) | instskip(SKIP_1) | instid1(SALU_CYCLE_1)
	s_cmp_lg_u64 s[6:7], 0
	s_cselect_b32 s2, -1, 0
	s_and_saveexec_b32 s3, s2
	s_delay_alu instid0(SALU_CYCLE_1)
	s_xor_b32 s3, exec_lo, s3
	s_cbranch_execz .LBB3_21
; %bb.20:                               ;   in Loop: Header=BB3_19 Depth=2
	s_ashr_i32 s4, s17, 31
	s_mov_b32 s49, s6
	s_mov_b32 s5, s4
	;; [unrolled: 1-line block ×3, first 2 shown]
	s_add_nc_u64 s[36:37], s[16:17], s[4:5]
	v_add_nc_u64_e32 v[10:11], 0, v[0:1]
	s_xor_b64 s[36:37], s[36:37], s[4:5]
	v_mov_b32_e32 v13, v1
	s_cvt_f32_u32 s2, s36
	s_cvt_f32_u32 s5, s37
	s_sub_nc_u64 s[46:47], 0, s[36:37]
	s_delay_alu instid0(VALU_DEP_2) | instskip(NEXT) | instid1(SALU_CYCLE_1)
	v_dual_mov_b32 v15, v1 :: v_dual_mov_b32 v14, v11
	s_fmamk_f32 s2, s5, 0x4f800000, s2
	v_dual_mov_b32 v12, v10 :: v_dual_mov_b32 v19, v1
	s_delay_alu instid0(SALU_CYCLE_2) | instskip(NEXT) | instid1(TRANS32_DEP_1)
	v_s_rcp_f32 s2, s2
	s_mul_f32 s2, s2, 0x5f7ffffc
	s_delay_alu instid0(SALU_CYCLE_3) | instskip(NEXT) | instid1(SALU_CYCLE_3)
	s_mul_f32 s5, s2, 0x2f800000
	s_trunc_f32 s5, s5
	s_delay_alu instid0(SALU_CYCLE_3) | instskip(SKIP_1) | instid1(SALU_CYCLE_2)
	s_fmamk_f32 s2, s5, 0xcf800000, s2
	s_cvt_u32_f32 s45, s5
	s_cvt_u32_f32 s44, s2
	s_delay_alu instid0(SALU_CYCLE_3) | instskip(NEXT) | instid1(SALU_CYCLE_1)
	s_mul_u64 s[50:51], s[46:47], s[44:45]
	s_mul_hi_u32 s55, s44, s51
	s_mul_i32 s54, s44, s51
	s_mul_hi_u32 s48, s44, s50
	s_mul_i32 s5, s45, s50
	s_add_nc_u64 s[48:49], s[48:49], s[54:55]
	s_mul_hi_u32 s2, s45, s50
	s_mul_hi_u32 s7, s45, s51
	s_add_co_u32 s5, s48, s5
	s_add_co_ci_u32 s52, s49, s2
	s_mul_i32 s50, s45, s51
	s_add_co_ci_u32 s51, s7, 0
	s_delay_alu instid0(SALU_CYCLE_1) | instskip(SKIP_3) | instid1(SALU_CYCLE_1)
	s_add_nc_u64 s[48:49], s[52:53], s[50:51]
	s_mov_b32 s51, s6
	s_add_co_u32 s44, s44, s48
	s_cselect_b32 s2, -1, 0
	s_cmp_lg_u32 s2, 0
	s_add_co_ci_u32 s45, s45, s49
	s_mov_b32 s49, s6
	s_mul_u64 s[46:47], s[46:47], s[44:45]
	s_delay_alu instid0(SALU_CYCLE_1)
	s_mul_hi_u32 s53, s44, s47
	s_mul_i32 s52, s44, s47
	s_mul_hi_u32 s50, s44, s46
	s_mul_i32 s5, s45, s46
	s_add_nc_u64 s[50:51], s[50:51], s[52:53]
	s_mul_hi_u32 s2, s45, s46
	s_mul_hi_u32 s7, s45, s47
	s_add_co_u32 s5, s50, s5
	s_add_co_ci_u32 s48, s51, s2
	s_mul_i32 s46, s45, s47
	s_add_co_ci_u32 s47, s7, 0
	s_delay_alu instid0(SALU_CYCLE_1) | instskip(NEXT) | instid1(SALU_CYCLE_1)
	s_add_nc_u64 s[46:47], s[48:49], s[46:47]
	s_add_co_u32 s2, s44, s46
	s_cselect_b32 s5, -1, 0
	v_nop
	v_mul_hi_u32 v18, v10, s2
	s_cmp_lg_u32 s5, 0
	s_add_co_ci_u32 s48, s45, s47
	s_and_b64 s[44:45], s[2:3], s[20:21]
	v_mul_u64_e32 v[12:13], s[48:49], v[12:13]
	v_mul_u64_e32 v[16:17], s[44:45], v[14:15]
	;; [unrolled: 1-line block ×3, first 2 shown]
	s_delay_alu instid0(VALU_DEP_3) | instskip(NEXT) | instid1(VALU_DEP_1)
	v_add_nc_u64_e32 v[12:13], v[18:19], v[12:13]
	v_add_co_u32 v12, vcc_lo, v12, v16
	s_delay_alu instid0(VALU_DEP_2) | instskip(NEXT) | instid1(VALU_DEP_4)
	v_add_co_ci_u32_e32 v18, vcc_lo, v13, v17, vcc_lo
	v_add_co_ci_u32_e32 v15, vcc_lo, 0, v15, vcc_lo
	s_delay_alu instid0(VALU_DEP_1) | instskip(NEXT) | instid1(VALU_DEP_1)
	v_add_nc_u64_e32 v[12:13], v[18:19], v[14:15]
	v_mul_u64_e32 v[14:15], s[36:37], v[12:13]
	s_delay_alu instid0(VALU_DEP_1) | instskip(NEXT) | instid1(VALU_DEP_2)
	v_sub_nc_u32_e32 v16, v11, v15
	v_sub_co_u32 v10, vcc_lo, v10, v14
	s_delay_alu instid0(VALU_DEP_1) | instskip(NEXT) | instid1(VALU_DEP_3)
	v_sub_co_ci_u32_e64 v15, null, v11, v15, vcc_lo
	v_subrev_co_ci_u32_e64 v14, null, s37, v16, vcc_lo
	s_delay_alu instid0(VALU_DEP_3) | instskip(SKIP_1) | instid1(VALU_DEP_3)
	v_sub_co_u32 v18, s2, v10, s36
	v_cmp_le_u32_e32 vcc_lo, s36, v10
	v_subrev_co_ci_u32_e64 v14, null, 0, v14, s2
	s_delay_alu instid0(VALU_DEP_3) | instskip(SKIP_2) | instid1(VALU_DEP_4)
	v_cmp_le_u32_e64 s2, s36, v18
	v_add_nc_u64_e32 v[16:17], 2, v[12:13]
	v_cndmask_b32_e64 v20, 0, -1, vcc_lo
	v_cmp_eq_u32_e32 vcc_lo, s37, v14
	v_add_nc_u64_e32 v[10:11], 1, v[12:13]
	v_cndmask_b32_e64 v18, 0, -1, s2
	v_cmp_le_u32_e64 s2, s37, v14
	s_delay_alu instid0(VALU_DEP_1) | instskip(SKIP_1) | instid1(VALU_DEP_2)
	v_cndmask_b32_e64 v19, 0, -1, s2
	v_cmp_eq_u32_e64 s2, s37, v15
	v_cndmask_b32_e32 v14, v19, v18, vcc_lo
	v_cmp_le_u32_e32 vcc_lo, s37, v15
	v_cndmask_b32_e64 v18, 0, -1, vcc_lo
	s_delay_alu instid0(VALU_DEP_3) | instskip(NEXT) | instid1(VALU_DEP_2)
	v_cmp_ne_u32_e32 vcc_lo, 0, v14
	v_dual_cndmask_b32 v14, v18, v20, s2 :: v_dual_cndmask_b32 v11, v11, v17, vcc_lo
	v_cndmask_b32_e32 v10, v10, v16, vcc_lo
	s_delay_alu instid0(VALU_DEP_2) | instskip(NEXT) | instid1(VALU_DEP_2)
	v_cmp_ne_u32_e32 vcc_lo, 0, v14
	v_dual_cndmask_b32 v13, v13, v11 :: v_dual_cndmask_b32 v12, v12, v10
	v_dual_mov_b32 v11, s4 :: v_dual_mov_b32 v10, s4
	s_delay_alu instid0(VALU_DEP_2) | instskip(NEXT) | instid1(VALU_DEP_3)
	v_xor_b32_e32 v13, s4, v13
	v_xor_b32_e32 v12, s4, v12
	s_delay_alu instid0(VALU_DEP_1)
	v_sub_nc_u64_e32 v[10:11], v[12:13], v[10:11]
.LBB3_21:                               ;   in Loop: Header=BB3_19 Depth=2
	s_or_saveexec_b32 s2, s3
	v_cvt_f32_u32_e32 v16, s16
	s_xor_b32 exec_lo, exec_lo, s2
	s_cbranch_execz .LBB3_23
; %bb.22:                               ;   in Loop: Header=BB3_19 Depth=2
	s_delay_alu instid0(VALU_DEP_1) | instskip(SKIP_2) | instid1(TRANS32_DEP_1)
	v_rcp_iflag_f32_e32 v10, v16
	s_sub_co_i32 s3, 0, s16
	v_nop
	v_mul_f32_e32 v10, 0x4f7ffffe, v10
	s_delay_alu instid0(VALU_DEP_1) | instskip(NEXT) | instid1(VALU_DEP_1)
	v_cvt_u32_f32_e32 v10, v10
	v_mul_lo_u32 v11, s3, v10
	s_delay_alu instid0(VALU_DEP_1) | instskip(NEXT) | instid1(VALU_DEP_1)
	v_mul_hi_u32 v11, v10, v11
	v_add_nc_u32_e32 v10, v10, v11
	s_delay_alu instid0(VALU_DEP_1) | instskip(NEXT) | instid1(VALU_DEP_1)
	v_mul_hi_u32 v10, v0, v10
	v_mul_lo_u32 v11, v10, s16
	s_delay_alu instid0(VALU_DEP_1) | instskip(NEXT) | instid1(VALU_DEP_1)
	v_dual_add_nc_u32 v12, 1, v10 :: v_dual_sub_nc_u32 v11, v0, v11
	v_subrev_nc_u32_e32 v13, s16, v11
	v_cmp_le_u32_e32 vcc_lo, s16, v11
	s_delay_alu instid0(VALU_DEP_2) | instskip(NEXT) | instid1(VALU_DEP_1)
	v_dual_cndmask_b32 v11, v11, v13 :: v_dual_cndmask_b32 v10, v10, v12
	v_cmp_le_u32_e32 vcc_lo, s16, v11
	s_delay_alu instid0(VALU_DEP_2) | instskip(NEXT) | instid1(VALU_DEP_1)
	v_dual_mov_b32 v11, v1 :: v_dual_add_nc_u32 v12, 1, v10
	v_cndmask_b32_e32 v10, v10, v12, vcc_lo
.LBB3_23:                               ;   in Loop: Header=BB3_19 Depth=2
	s_or_b32 exec_lo, exec_lo, s2
	s_delay_alu instid0(VALU_DEP_1) | instskip(NEXT) | instid1(VALU_DEP_1)
	v_mul_u64_e32 v[12:13], s[16:17], v[10:11]
	v_sub_nc_u64_e32 v[12:13], v[0:1], v[12:13]
	s_delay_alu instid0(VALU_DEP_1) | instskip(NEXT) | instid1(VALU_DEP_1)
	v_mul_u64_e32 v[14:15], s[18:19], v[12:13]
	v_dual_mov_b32 v12, v1 :: v_dual_bitop2_b32 v13, s17, v15 bitop3:0x54
	s_delay_alu instid0(VALU_DEP_1) | instskip(SKIP_1) | instid1(SALU_CYCLE_1)
	v_cmp_ne_u64_e32 vcc_lo, 0, v[12:13]
                                        ; implicit-def: $vgpr12_vgpr13
	s_and_saveexec_b32 s2, vcc_lo
	s_xor_b32 s3, exec_lo, s2
	s_cbranch_execz .LBB3_25
; %bb.24:                               ;   in Loop: Header=BB3_19 Depth=2
	s_ashr_i32 s4, s17, 31
	s_mov_b32 s49, s6
	s_mov_b32 s5, s4
	s_mov_b32 s53, s6
	s_add_nc_u64 s[36:37], s[16:17], s[4:5]
	v_dual_mov_b32 v19, v1 :: v_dual_ashrrev_i32 v12, 31, v15
	s_xor_b64 s[36:37], s[36:37], s[4:5]
	s_delay_alu instid0(SALU_CYCLE_1) | instskip(SKIP_3) | instid1(SALU_CYCLE_1)
	s_cvt_f32_u32 s2, s36
	s_cvt_f32_u32 s5, s37
	s_sub_nc_u64 s[46:47], 0, s[36:37]
	v_mov_b32_e32 v13, v12
	s_fmamk_f32 s2, s5, 0x4f800000, s2
	s_delay_alu instid0(VALU_DEP_1) | instskip(NEXT) | instid1(SALU_CYCLE_2)
	v_add_nc_u64_e32 v[14:15], v[14:15], v[12:13]
	v_s_rcp_f32 s2, s2
	s_delay_alu instid0(VALU_DEP_1) | instskip(NEXT) | instid1(VALU_DEP_2)
	v_dual_mov_b32 v29, v1 :: v_dual_bitop2_b32 v28, v15, v12 bitop3:0x14
	v_xor_b32_e32 v18, v14, v12
	s_delay_alu instid0(TRANS32_DEP_1) | instskip(SKIP_1) | instid1(SALU_CYCLE_2)
	s_mul_f32 s2, s2, 0x5f7ffffc
	v_mov_b32_e32 v33, v1
	s_mul_f32 s5, s2, 0x2f800000
	s_delay_alu instid0(SALU_CYCLE_3) | instskip(NEXT) | instid1(SALU_CYCLE_3)
	s_trunc_f32 s5, s5
	s_fmamk_f32 s2, s5, 0xcf800000, s2
	s_cvt_u32_f32 s45, s5
	s_delay_alu instid0(SALU_CYCLE_2) | instskip(NEXT) | instid1(SALU_CYCLE_3)
	s_cvt_u32_f32 s44, s2
	s_mul_u64 s[50:51], s[46:47], s[44:45]
	s_delay_alu instid0(SALU_CYCLE_1)
	s_mul_hi_u32 s55, s44, s51
	s_mul_i32 s54, s44, s51
	s_mul_hi_u32 s48, s44, s50
	s_mul_i32 s5, s45, s50
	s_add_nc_u64 s[48:49], s[48:49], s[54:55]
	s_mul_hi_u32 s2, s45, s50
	s_mul_hi_u32 s7, s45, s51
	s_add_co_u32 s5, s48, s5
	s_add_co_ci_u32 s52, s49, s2
	s_mul_i32 s50, s45, s51
	s_add_co_ci_u32 s51, s7, 0
	s_delay_alu instid0(SALU_CYCLE_1) | instskip(SKIP_3) | instid1(SALU_CYCLE_1)
	s_add_nc_u64 s[48:49], s[52:53], s[50:51]
	s_mov_b32 s51, s6
	s_add_co_u32 s44, s44, s48
	s_cselect_b32 s2, -1, 0
	s_cmp_lg_u32 s2, 0
	s_add_co_ci_u32 s45, s45, s49
	s_mov_b32 s49, s6
	s_mul_u64 s[46:47], s[46:47], s[44:45]
	s_delay_alu instid0(SALU_CYCLE_1)
	s_mul_hi_u32 s53, s44, s47
	s_mul_i32 s52, s44, s47
	s_mul_hi_u32 s50, s44, s46
	s_mul_i32 s5, s45, s46
	s_add_nc_u64 s[50:51], s[50:51], s[52:53]
	s_mul_hi_u32 s2, s45, s46
	s_mul_hi_u32 s7, s45, s47
	s_add_co_u32 s5, s50, s5
	s_add_co_ci_u32 s48, s51, s2
	s_mul_i32 s46, s45, s47
	s_add_co_ci_u32 s47, s7, 0
	s_delay_alu instid0(SALU_CYCLE_1) | instskip(NEXT) | instid1(SALU_CYCLE_1)
	s_add_nc_u64 s[46:47], s[48:49], s[46:47]
	s_add_co_u32 s2, s44, s46
	s_cselect_b32 s5, -1, 0
	v_mul_hi_u32 v32, v18, s2
	s_cmp_lg_u32 s5, 0
	s_add_co_ci_u32 s48, s45, s47
	s_and_b64 s[44:45], s[2:3], s[20:21]
	v_mul_u64_e32 v[20:21], s[48:49], v[18:19]
	v_mul_u64_e32 v[14:15], s[44:45], v[28:29]
	;; [unrolled: 1-line block ×3, first 2 shown]
	s_delay_alu instid0(VALU_DEP_3) | instskip(NEXT) | instid1(VALU_DEP_1)
	v_add_nc_u64_e32 v[20:21], v[32:33], v[20:21]
	v_add_co_u32 v11, vcc_lo, v20, v14
	s_delay_alu instid0(VALU_DEP_2) | instskip(NEXT) | instid1(VALU_DEP_4)
	v_add_co_ci_u32_e32 v32, vcc_lo, v21, v15, vcc_lo
	v_add_co_ci_u32_e32 v31, vcc_lo, 0, v31, vcc_lo
	s_delay_alu instid0(VALU_DEP_1) | instskip(NEXT) | instid1(VALU_DEP_1)
	v_add_nc_u64_e32 v[14:15], v[32:33], v[30:31]
	v_mul_u64_e32 v[20:21], s[36:37], v[14:15]
	s_delay_alu instid0(VALU_DEP_1) | instskip(NEXT) | instid1(VALU_DEP_2)
	v_sub_nc_u32_e32 v11, v28, v21
	v_sub_co_u32 v13, vcc_lo, v18, v20
	s_delay_alu instid0(VALU_DEP_1) | instskip(NEXT) | instid1(VALU_DEP_3)
	v_sub_co_ci_u32_e64 v27, null, v28, v21, vcc_lo
	v_subrev_co_ci_u32_e64 v11, null, s37, v11, vcc_lo
	s_delay_alu instid0(VALU_DEP_3) | instskip(SKIP_1) | instid1(VALU_DEP_3)
	v_sub_co_u32 v17, s2, v13, s36
	v_add_nc_u64_e32 v[20:21], 1, v[14:15]
	v_subrev_co_ci_u32_e64 v11, null, 0, v11, s2
	s_delay_alu instid0(VALU_DEP_3) | instskip(SKIP_1) | instid1(VALU_DEP_3)
	v_cmp_le_u32_e32 vcc_lo, s36, v17
	v_cndmask_b32_e64 v17, 0, -1, vcc_lo
	v_cmp_le_u32_e32 vcc_lo, s37, v11
	v_cndmask_b32_e64 v18, 0, -1, vcc_lo
	;; [unrolled: 2-line block ×4, first 2 shown]
	v_cmp_eq_u32_e32 vcc_lo, s37, v11
	v_cndmask_b32_e32 v11, v18, v17, vcc_lo
	v_cmp_eq_u32_e32 vcc_lo, s37, v27
	v_add_nc_u64_e32 v[18:19], 2, v[14:15]
	v_cndmask_b32_e32 v13, v28, v13, vcc_lo
	s_delay_alu instid0(VALU_DEP_4) | instskip(NEXT) | instid1(VALU_DEP_3)
	v_cmp_ne_u32_e32 vcc_lo, 0, v11
	v_cndmask_b32_e32 v11, v21, v19, vcc_lo
	s_delay_alu instid0(VALU_DEP_3) | instskip(SKIP_1) | instid1(VALU_DEP_1)
	v_cmp_ne_u32_e64 s2, 0, v13
	v_dual_cndmask_b32 v13, v20, v18, vcc_lo :: v_dual_bitop2_b32 v12, s4, v12 bitop3:0x14
	v_dual_cndmask_b32 v11, v15, v11, s2 :: v_dual_cndmask_b32 v14, v14, v13, s2
	s_delay_alu instid0(VALU_DEP_1) | instskip(NEXT) | instid1(VALU_DEP_2)
	v_dual_mov_b32 v13, v12 :: v_dual_bitop2_b32 v15, v11, v12 bitop3:0x14
	v_xor_b32_e32 v14, v14, v12
	s_delay_alu instid0(VALU_DEP_1)
	v_sub_nc_u64_e32 v[12:13], v[14:15], v[12:13]
                                        ; implicit-def: $vgpr14_vgpr15
.LBB3_25:                               ;   in Loop: Header=BB3_19 Depth=2
	s_and_not1_saveexec_b32 s2, s3
	s_cbranch_execz .LBB3_27
; %bb.26:                               ;   in Loop: Header=BB3_19 Depth=2
	v_rcp_iflag_f32_e32 v11, v16
	s_sub_co_i32 s3, 0, s16
	v_nop
	s_delay_alu instid0(TRANS32_DEP_1) | instskip(NEXT) | instid1(VALU_DEP_1)
	v_mul_f32_e32 v11, 0x4f7ffffe, v11
	v_cvt_u32_f32_e32 v11, v11
	s_delay_alu instid0(VALU_DEP_1) | instskip(NEXT) | instid1(VALU_DEP_1)
	v_mul_lo_u32 v12, s3, v11
	v_mul_hi_u32 v12, v11, v12
	s_delay_alu instid0(VALU_DEP_1) | instskip(NEXT) | instid1(VALU_DEP_1)
	v_add_nc_u32_e32 v11, v11, v12
	v_mul_hi_u32 v11, v14, v11
	s_delay_alu instid0(VALU_DEP_1) | instskip(NEXT) | instid1(VALU_DEP_1)
	v_mul_lo_u32 v12, v11, s16
	v_dual_add_nc_u32 v13, 1, v11 :: v_dual_sub_nc_u32 v12, v14, v12
	s_delay_alu instid0(VALU_DEP_1) | instskip(SKIP_1) | instid1(VALU_DEP_2)
	v_subrev_nc_u32_e32 v14, s16, v12
	v_cmp_le_u32_e32 vcc_lo, s16, v12
	v_dual_cndmask_b32 v12, v12, v14 :: v_dual_cndmask_b32 v11, v11, v13
	s_delay_alu instid0(VALU_DEP_1) | instskip(NEXT) | instid1(VALU_DEP_2)
	v_cmp_le_u32_e32 vcc_lo, s16, v12
	v_add_nc_u32_e32 v13, 1, v11
	s_delay_alu instid0(VALU_DEP_1)
	v_dual_cndmask_b32 v12, v11, v13 :: v_dual_mov_b32 v13, v1
.LBB3_27:                               ;   in Loop: Header=BB3_19 Depth=2
	s_or_b32 exec_lo, exec_lo, s2
	v_dual_mov_b32 v18, v1 :: v_dual_add_nc_u32 v11, 1, v0
	s_delay_alu instid0(VALU_DEP_1) | instskip(NEXT) | instid1(VALU_DEP_1)
	v_mad_nc_u64_u32 v[14:15], v11, s18, -1
	v_mad_u32 v15, v11, s19, v15
	s_delay_alu instid0(VALU_DEP_1) | instskip(NEXT) | instid1(VALU_DEP_1)
	v_or_b32_e32 v19, s17, v15
	v_cmp_ne_u64_e32 vcc_lo, 0, v[18:19]
                                        ; implicit-def: $vgpr18_vgpr19
	s_and_saveexec_b32 s2, vcc_lo
	s_delay_alu instid0(SALU_CYCLE_1)
	s_xor_b32 s3, exec_lo, s2
	s_cbranch_execz .LBB3_29
; %bb.28:                               ;   in Loop: Header=BB3_19 Depth=2
	s_ashr_i32 s4, s17, 31
	s_mov_b32 s49, s6
	s_mov_b32 s5, s4
	;; [unrolled: 1-line block ×3, first 2 shown]
	s_add_nc_u64 s[36:37], s[16:17], s[4:5]
	v_dual_mov_b32 v19, v1 :: v_dual_ashrrev_i32 v16, 31, v15
	s_xor_b64 s[36:37], s[36:37], s[4:5]
	s_delay_alu instid0(SALU_CYCLE_1) | instskip(SKIP_3) | instid1(SALU_CYCLE_1)
	s_cvt_f32_u32 s2, s36
	s_cvt_f32_u32 s5, s37
	s_sub_nc_u64 s[46:47], 0, s[36:37]
	v_mov_b32_e32 v17, v16
	s_fmamk_f32 s2, s5, 0x4f800000, s2
	s_delay_alu instid0(VALU_DEP_1) | instskip(NEXT) | instid1(SALU_CYCLE_2)
	v_add_nc_u64_e32 v[14:15], v[14:15], v[16:17]
	v_s_rcp_f32 s2, s2
	s_delay_alu instid0(VALU_DEP_1) | instskip(NEXT) | instid1(VALU_DEP_2)
	v_dual_mov_b32 v29, v1 :: v_dual_bitop2_b32 v28, v15, v16 bitop3:0x14
	v_xor_b32_e32 v18, v14, v16
	s_delay_alu instid0(TRANS32_DEP_1) | instskip(SKIP_1) | instid1(SALU_CYCLE_2)
	s_mul_f32 s2, s2, 0x5f7ffffc
	v_mov_b32_e32 v33, v1
	s_mul_f32 s5, s2, 0x2f800000
	s_delay_alu instid0(SALU_CYCLE_3) | instskip(NEXT) | instid1(SALU_CYCLE_3)
	s_trunc_f32 s5, s5
	s_fmamk_f32 s2, s5, 0xcf800000, s2
	s_cvt_u32_f32 s45, s5
	s_delay_alu instid0(SALU_CYCLE_2) | instskip(NEXT) | instid1(SALU_CYCLE_3)
	s_cvt_u32_f32 s44, s2
	s_mul_u64 s[50:51], s[46:47], s[44:45]
	s_delay_alu instid0(SALU_CYCLE_1)
	s_mul_hi_u32 s55, s44, s51
	s_mul_i32 s54, s44, s51
	s_mul_hi_u32 s48, s44, s50
	s_mul_i32 s5, s45, s50
	s_add_nc_u64 s[48:49], s[48:49], s[54:55]
	s_mul_hi_u32 s2, s45, s50
	s_mul_hi_u32 s7, s45, s51
	s_add_co_u32 s5, s48, s5
	s_add_co_ci_u32 s52, s49, s2
	s_mul_i32 s50, s45, s51
	s_add_co_ci_u32 s51, s7, 0
	s_delay_alu instid0(SALU_CYCLE_1) | instskip(SKIP_3) | instid1(SALU_CYCLE_1)
	s_add_nc_u64 s[48:49], s[52:53], s[50:51]
	s_mov_b32 s51, s6
	s_add_co_u32 s44, s44, s48
	s_cselect_b32 s2, -1, 0
	s_cmp_lg_u32 s2, 0
	s_add_co_ci_u32 s45, s45, s49
	s_mov_b32 s49, s6
	s_mul_u64 s[46:47], s[46:47], s[44:45]
	s_delay_alu instid0(SALU_CYCLE_1)
	s_mul_hi_u32 s53, s44, s47
	s_mul_i32 s52, s44, s47
	s_mul_hi_u32 s50, s44, s46
	s_mul_i32 s5, s45, s46
	s_add_nc_u64 s[50:51], s[50:51], s[52:53]
	s_mul_hi_u32 s2, s45, s46
	s_mul_hi_u32 s7, s45, s47
	s_add_co_u32 s5, s50, s5
	s_add_co_ci_u32 s48, s51, s2
	s_mul_i32 s46, s45, s47
	s_add_co_ci_u32 s47, s7, 0
	s_delay_alu instid0(SALU_CYCLE_1) | instskip(NEXT) | instid1(SALU_CYCLE_1)
	s_add_nc_u64 s[46:47], s[48:49], s[46:47]
	s_add_co_u32 s2, s44, s46
	s_cselect_b32 s5, -1, 0
	v_mul_hi_u32 v32, v18, s2
	s_cmp_lg_u32 s5, 0
	s_add_co_ci_u32 s48, s45, s47
	s_and_b64 s[44:45], s[2:3], s[20:21]
	v_mul_u64_e32 v[20:21], s[48:49], v[18:19]
	v_mul_u64_e32 v[14:15], s[44:45], v[28:29]
	;; [unrolled: 1-line block ×3, first 2 shown]
	s_delay_alu instid0(VALU_DEP_3) | instskip(NEXT) | instid1(VALU_DEP_1)
	v_add_nc_u64_e32 v[20:21], v[32:33], v[20:21]
	v_add_co_u32 v11, vcc_lo, v20, v14
	s_delay_alu instid0(VALU_DEP_2) | instskip(NEXT) | instid1(VALU_DEP_4)
	v_add_co_ci_u32_e32 v32, vcc_lo, v21, v15, vcc_lo
	v_add_co_ci_u32_e32 v31, vcc_lo, 0, v31, vcc_lo
	s_delay_alu instid0(VALU_DEP_1) | instskip(NEXT) | instid1(VALU_DEP_1)
	v_add_nc_u64_e32 v[14:15], v[32:33], v[30:31]
	v_mul_u64_e32 v[20:21], s[36:37], v[14:15]
	s_delay_alu instid0(VALU_DEP_1) | instskip(NEXT) | instid1(VALU_DEP_2)
	v_sub_nc_u32_e32 v11, v28, v21
	v_sub_co_u32 v17, vcc_lo, v18, v20
	s_delay_alu instid0(VALU_DEP_1) | instskip(NEXT) | instid1(VALU_DEP_3)
	v_sub_co_ci_u32_e64 v27, null, v28, v21, vcc_lo
	v_subrev_co_ci_u32_e64 v11, null, s37, v11, vcc_lo
	s_delay_alu instid0(VALU_DEP_3) | instskip(SKIP_1) | instid1(VALU_DEP_3)
	v_sub_co_u32 v18, s2, v17, s36
	v_add_nc_u64_e32 v[20:21], 1, v[14:15]
	v_subrev_co_ci_u32_e64 v11, null, 0, v11, s2
	s_delay_alu instid0(VALU_DEP_3) | instskip(SKIP_1) | instid1(VALU_DEP_3)
	v_cmp_le_u32_e32 vcc_lo, s36, v18
	v_cndmask_b32_e64 v18, 0, -1, vcc_lo
	v_cmp_le_u32_e32 vcc_lo, s37, v11
	v_cndmask_b32_e64 v19, 0, -1, vcc_lo
	;; [unrolled: 2-line block ×4, first 2 shown]
	v_cmp_eq_u32_e32 vcc_lo, s37, v11
	v_cndmask_b32_e32 v11, v19, v18, vcc_lo
	v_cmp_eq_u32_e32 vcc_lo, s37, v27
	v_add_nc_u64_e32 v[18:19], 2, v[14:15]
	v_cndmask_b32_e32 v17, v28, v17, vcc_lo
	s_delay_alu instid0(VALU_DEP_4) | instskip(NEXT) | instid1(VALU_DEP_2)
	v_cmp_ne_u32_e32 vcc_lo, 0, v11
	v_cmp_ne_u32_e64 s2, 0, v17
	s_delay_alu instid0(VALU_DEP_4) | instskip(NEXT) | instid1(VALU_DEP_1)
	v_dual_cndmask_b32 v11, v21, v19, vcc_lo :: v_dual_cndmask_b32 v17, v20, v18, vcc_lo
	v_dual_cndmask_b32 v11, v15, v11, s2 :: v_dual_bitop2_b32 v16, s4, v16 bitop3:0x14
	s_delay_alu instid0(VALU_DEP_1) | instskip(NEXT) | instid1(VALU_DEP_2)
	v_dual_cndmask_b32 v14, v14, v17, s2 :: v_dual_mov_b32 v17, v16
	v_xor_b32_e32 v15, v11, v16
	s_delay_alu instid0(VALU_DEP_2) | instskip(NEXT) | instid1(VALU_DEP_1)
	v_xor_b32_e32 v14, v14, v16
	v_sub_nc_u64_e32 v[18:19], v[14:15], v[16:17]
                                        ; implicit-def: $vgpr16
                                        ; implicit-def: $vgpr14_vgpr15
.LBB3_29:                               ;   in Loop: Header=BB3_19 Depth=2
	s_and_not1_saveexec_b32 s2, s3
	s_cbranch_execz .LBB3_31
; %bb.30:                               ;   in Loop: Header=BB3_19 Depth=2
	v_rcp_iflag_f32_e32 v11, v16
	s_sub_co_i32 s3, 0, s16
	v_nop
	s_delay_alu instid0(TRANS32_DEP_1) | instskip(NEXT) | instid1(VALU_DEP_1)
	v_mul_f32_e32 v11, 0x4f7ffffe, v11
	v_cvt_u32_f32_e32 v11, v11
	s_delay_alu instid0(VALU_DEP_1) | instskip(NEXT) | instid1(VALU_DEP_1)
	v_mul_lo_u32 v15, s3, v11
	v_mul_hi_u32 v15, v11, v15
	s_delay_alu instid0(VALU_DEP_1) | instskip(NEXT) | instid1(VALU_DEP_1)
	v_add_nc_u32_e32 v11, v11, v15
	v_mul_hi_u32 v11, v14, v11
	s_delay_alu instid0(VALU_DEP_1) | instskip(NEXT) | instid1(VALU_DEP_1)
	v_mul_lo_u32 v15, v11, s16
	v_sub_nc_u32_e32 v14, v14, v15
	v_add_nc_u32_e32 v15, 1, v11
	s_delay_alu instid0(VALU_DEP_2) | instskip(SKIP_1) | instid1(VALU_DEP_2)
	v_subrev_nc_u32_e32 v16, s16, v14
	v_cmp_le_u32_e32 vcc_lo, s16, v14
	v_dual_cndmask_b32 v14, v14, v16 :: v_dual_cndmask_b32 v11, v11, v15
	s_delay_alu instid0(VALU_DEP_1) | instskip(NEXT) | instid1(VALU_DEP_2)
	v_cmp_le_u32_e32 vcc_lo, s16, v14
	v_add_nc_u32_e32 v15, 1, v11
	s_delay_alu instid0(VALU_DEP_1)
	v_cndmask_b32_e32 v18, v11, v15, vcc_lo
.LBB3_31:                               ;   in Loop: Header=BB3_19 Depth=2
	s_or_b32 exec_lo, exec_lo, s2
	v_mad_nc_u64_u32 v[20:21], v10, s18, v[12:13]
	s_delay_alu instid0(VALU_DEP_1)
	v_dual_mov_b32 v13, 0xffffff80 :: v_dual_add_nc_u32 v14, v3, v20
	s_and_saveexec_b32 s5, s1
	s_cbranch_execz .LBB3_18
; %bb.32:                               ;   in Loop: Header=BB3_19 Depth=2
	v_mad_nc_u64_u32 v[16:17], s30, v20, v[4:5]
	v_sub_nc_u32_e32 v13, v18, v20
	s_mov_b32 s7, 0
	s_mov_b32 s36, 0
	s_delay_alu instid0(VALU_DEP_2) | instskip(SKIP_3) | instid1(VALU_DEP_3)
	v_mad_u32 v11, s31, v20, v17
	v_dual_ashrrev_i32 v17, 31, v20 :: v_dual_add_nc_u32 v10, v26, v10
	v_add_nc_u32_e32 v15, 1, v13
	v_mov_b32_e32 v13, 0xffffff80
	v_mad_u32 v12, s9, v10, v12
	s_delay_alu instid0(VALU_DEP_3)
	v_cmp_lt_i32_e32 vcc_lo, 0, v15
	v_mad_u32 v17, s30, v17, v11
	s_branch .LBB3_34
.LBB3_33:                               ;   in Loop: Header=BB3_34 Depth=3
	s_or_b32 exec_lo, exec_lo, s37
	s_add_co_i32 s36, s36, 1
	s_delay_alu instid0(VALU_DEP_1) | instskip(SKIP_1) | instid1(VALU_DEP_3)
	v_add_nc_u64_e32 v[16:17], s[26:27], v[16:17]
	v_cmp_ge_i32_e64 s2, s36, v25
	v_add_nc_u32_e32 v12, s9, v12
	s_or_b32 s7, s2, s7
	s_delay_alu instid0(SALU_CYCLE_1)
	s_and_not1_b32 exec_lo, exec_lo, s7
	s_cbranch_execz .LBB3_17
.LBB3_34:                               ;   Parent Loop BB3_3 Depth=1
                                        ;     Parent Loop BB3_19 Depth=2
                                        ; =>    This Loop Header: Depth=3
                                        ;         Child Loop BB3_36 Depth 4
	s_and_saveexec_b32 s37, vcc_lo
	s_cbranch_execz .LBB3_33
; %bb.35:                               ;   in Loop: Header=BB3_34 Depth=3
	s_delay_alu instid0(VALU_DEP_1)
	v_mov_b64_e32 v[10:11], v[16:17]
	s_mov_b32 s43, 0
	s_mov_b32 s44, 0
.LBB3_36:                               ;   Parent Loop BB3_3 Depth=1
                                        ;     Parent Loop BB3_19 Depth=2
                                        ;       Parent Loop BB3_34 Depth=3
                                        ; =>      This Inner Loop Header: Depth=4
	global_load_u16 v18, v[10:11], off
	v_lshlrev_b32_e32 v19, 16, v13
	s_wait_xcnt 0x0
	v_add_nc_u64_e32 v[10:11], s[30:31], v[10:11]
	s_wait_loadcnt 0x0
	v_lshlrev_b32_e32 v20, 16, v18
	s_delay_alu instid0(VALU_DEP_1) | instskip(SKIP_2) | instid1(SALU_CYCLE_1)
	v_cmp_gt_f32_e64 s2, v20, v19
	v_cmp_u_f32_e64 s3, v20, v20
	s_or_b32 s2, s2, s3
	v_dual_add_nc_u32 v19, s44, v12 :: v_dual_cndmask_b32 v13, v13, v18, s2
	s_add_co_i32 s44, s44, 1
	s_delay_alu instid0(SALU_CYCLE_1) | instskip(NEXT) | instid1(VALU_DEP_2)
	v_cmp_ge_i32_e64 s4, s44, v15
	v_cndmask_b32_e64 v14, v14, v19, s2
	s_or_b32 s43, s4, s43
	s_delay_alu instid0(SALU_CYCLE_1)
	s_and_not1_b32 exec_lo, exec_lo, s43
	s_cbranch_execnz .LBB3_36
; %bb.37:                               ;   in Loop: Header=BB3_34 Depth=3
	s_or_b32 exec_lo, exec_lo, s43
	s_branch .LBB3_33
.LBB3_38:
	s_endpgm
	.section	.rodata,"a",@progbits
	.p2align	6, 0x0
	.amdhsa_kernel _ZN2at6native12_GLOBAL__N_115adaptivemaxpoolIN3c108BFloat16EEEvPKT_PS5_Pliiiilll
		.amdhsa_group_segment_fixed_size 0
		.amdhsa_private_segment_fixed_size 0
		.amdhsa_kernarg_size 320
		.amdhsa_user_sgpr_count 2
		.amdhsa_user_sgpr_dispatch_ptr 0
		.amdhsa_user_sgpr_queue_ptr 0
		.amdhsa_user_sgpr_kernarg_segment_ptr 1
		.amdhsa_user_sgpr_dispatch_id 0
		.amdhsa_user_sgpr_kernarg_preload_length 0
		.amdhsa_user_sgpr_kernarg_preload_offset 0
		.amdhsa_user_sgpr_private_segment_size 0
		.amdhsa_wavefront_size32 1
		.amdhsa_uses_dynamic_stack 0
		.amdhsa_enable_private_segment 0
		.amdhsa_system_sgpr_workgroup_id_x 1
		.amdhsa_system_sgpr_workgroup_id_y 1
		.amdhsa_system_sgpr_workgroup_id_z 0
		.amdhsa_system_sgpr_workgroup_info 0
		.amdhsa_system_vgpr_workitem_id 1
		.amdhsa_next_free_vgpr 34
		.amdhsa_next_free_sgpr 56
		.amdhsa_named_barrier_count 0
		.amdhsa_reserve_vcc 1
		.amdhsa_float_round_mode_32 0
		.amdhsa_float_round_mode_16_64 0
		.amdhsa_float_denorm_mode_32 3
		.amdhsa_float_denorm_mode_16_64 3
		.amdhsa_fp16_overflow 0
		.amdhsa_memory_ordered 1
		.amdhsa_forward_progress 1
		.amdhsa_inst_pref_size 39
		.amdhsa_round_robin_scheduling 0
		.amdhsa_exception_fp_ieee_invalid_op 0
		.amdhsa_exception_fp_denorm_src 0
		.amdhsa_exception_fp_ieee_div_zero 0
		.amdhsa_exception_fp_ieee_overflow 0
		.amdhsa_exception_fp_ieee_underflow 0
		.amdhsa_exception_fp_ieee_inexact 0
		.amdhsa_exception_int_div_zero 0
	.end_amdhsa_kernel
	.section	.text._ZN2at6native12_GLOBAL__N_115adaptivemaxpoolIN3c108BFloat16EEEvPKT_PS5_Pliiiilll,"axG",@progbits,_ZN2at6native12_GLOBAL__N_115adaptivemaxpoolIN3c108BFloat16EEEvPKT_PS5_Pliiiilll,comdat
.Lfunc_end3:
	.size	_ZN2at6native12_GLOBAL__N_115adaptivemaxpoolIN3c108BFloat16EEEvPKT_PS5_Pliiiilll, .Lfunc_end3-_ZN2at6native12_GLOBAL__N_115adaptivemaxpoolIN3c108BFloat16EEEvPKT_PS5_Pliiiilll
                                        ; -- End function
	.set _ZN2at6native12_GLOBAL__N_115adaptivemaxpoolIN3c108BFloat16EEEvPKT_PS5_Pliiiilll.num_vgpr, 34
	.set _ZN2at6native12_GLOBAL__N_115adaptivemaxpoolIN3c108BFloat16EEEvPKT_PS5_Pliiiilll.num_agpr, 0
	.set _ZN2at6native12_GLOBAL__N_115adaptivemaxpoolIN3c108BFloat16EEEvPKT_PS5_Pliiiilll.numbered_sgpr, 56
	.set _ZN2at6native12_GLOBAL__N_115adaptivemaxpoolIN3c108BFloat16EEEvPKT_PS5_Pliiiilll.num_named_barrier, 0
	.set _ZN2at6native12_GLOBAL__N_115adaptivemaxpoolIN3c108BFloat16EEEvPKT_PS5_Pliiiilll.private_seg_size, 0
	.set _ZN2at6native12_GLOBAL__N_115adaptivemaxpoolIN3c108BFloat16EEEvPKT_PS5_Pliiiilll.uses_vcc, 1
	.set _ZN2at6native12_GLOBAL__N_115adaptivemaxpoolIN3c108BFloat16EEEvPKT_PS5_Pliiiilll.uses_flat_scratch, 0
	.set _ZN2at6native12_GLOBAL__N_115adaptivemaxpoolIN3c108BFloat16EEEvPKT_PS5_Pliiiilll.has_dyn_sized_stack, 0
	.set _ZN2at6native12_GLOBAL__N_115adaptivemaxpoolIN3c108BFloat16EEEvPKT_PS5_Pliiiilll.has_recursion, 0
	.set _ZN2at6native12_GLOBAL__N_115adaptivemaxpoolIN3c108BFloat16EEEvPKT_PS5_Pliiiilll.has_indirect_call, 0
	.section	.AMDGPU.csdata,"",@progbits
; Kernel info:
; codeLenInByte = 4976
; TotalNumSgprs: 58
; NumVgprs: 34
; ScratchSize: 0
; MemoryBound: 0
; FloatMode: 240
; IeeeMode: 1
; LDSByteSize: 0 bytes/workgroup (compile time only)
; SGPRBlocks: 0
; VGPRBlocks: 2
; NumSGPRsForWavesPerEU: 58
; NumVGPRsForWavesPerEU: 34
; NamedBarCnt: 0
; Occupancy: 16
; WaveLimiterHint : 0
; COMPUTE_PGM_RSRC2:SCRATCH_EN: 0
; COMPUTE_PGM_RSRC2:USER_SGPR: 2
; COMPUTE_PGM_RSRC2:TRAP_HANDLER: 0
; COMPUTE_PGM_RSRC2:TGID_X_EN: 1
; COMPUTE_PGM_RSRC2:TGID_Y_EN: 1
; COMPUTE_PGM_RSRC2:TGID_Z_EN: 0
; COMPUTE_PGM_RSRC2:TIDIG_COMP_CNT: 1
	.section	.text._ZN2at6native12_GLOBAL__N_126atomicadaptivemaxgradinputIdEEvPT_PKS3_PKliiii,"axG",@progbits,_ZN2at6native12_GLOBAL__N_126atomicadaptivemaxgradinputIdEEvPT_PKS3_PKliiii,comdat
	.globl	_ZN2at6native12_GLOBAL__N_126atomicadaptivemaxgradinputIdEEvPT_PKS3_PKliiii ; -- Begin function _ZN2at6native12_GLOBAL__N_126atomicadaptivemaxgradinputIdEEvPT_PKS3_PKliiii
	.p2align	8
	.type	_ZN2at6native12_GLOBAL__N_126atomicadaptivemaxgradinputIdEEvPT_PKS3_PKliiii,@function
_ZN2at6native12_GLOBAL__N_126atomicadaptivemaxgradinputIdEEvPT_PKS3_PKliiii: ; @_ZN2at6native12_GLOBAL__N_126atomicadaptivemaxgradinputIdEEvPT_PKS3_PKliiii
; %bb.0:
	s_clause 0x1
	s_load_b32 s15, s[0:1], 0x34
	s_load_b128 s[4:7], s[0:1], 0x18
	s_bfe_u32 s2, ttmp6, 0x40010
	s_bfe_u32 s3, ttmp6, 0x40004
	s_add_co_i32 s2, s2, 1
	s_getreg_b32 s14, hwreg(HW_REG_IB_STS2, 6, 4)
	s_mul_i32 s2, ttmp7, s2
	v_bfe_u32 v1, v0, 10, 10
	s_add_co_i32 s3, s3, s2
	s_mov_b32 s8, exec_lo
	s_wait_kmcnt 0x0
	s_lshr_b32 s2, s15, 16
	s_cmp_eq_u32 s14, 0
	s_cselect_b32 s3, ttmp7, s3
	s_delay_alu instid0(SALU_CYCLE_1) | instskip(SKIP_1) | instid1(VALU_DEP_1)
	v_mad_u32 v8, s3, s2, v1
	s_mov_b32 s3, 0
	v_cmpx_gt_i32_e64 s6, v8
	s_cbranch_execz .LBB4_6
; %bb.1:
	s_add_nc_u64 s[16:17], s[0:1], 40
	v_and_b32_e32 v9, 0x3ff, v0
	s_load_b32 s18, s[16:17], 0x4
	s_clause 0x1
	s_load_b128 s[8:11], s[0:1], 0x0
	s_load_b64 s[12:13], s[0:1], 0x10
	s_wait_xcnt 0x0
	s_bfe_u32 s0, ttmp6, 0x4000c
	s_and_b32 s1, s15, 0xffff
	s_add_co_i32 s0, s0, 1
	s_and_b32 s15, ttmp6, 15
	s_mul_i32 s0, ttmp9, s0
	v_dual_mov_b32 v0, 0 :: v_dual_lshlrev_b32 v4, 3, v9
	s_add_co_i32 s15, s15, s0
	s_cmp_eq_u32 s14, 0
	v_mul_lo_u32 v2, s7, v8
	s_cselect_b32 s0, ttmp9, s15
	v_mov_b32_e32 v5, v0
	s_mul_i32 s4, s4, s0
	s_mul_i32 s0, s6, s0
	;; [unrolled: 1-line block ×4, first 2 shown]
	s_ashr_i32 s5, s4, 31
	s_ashr_i32 s17, s16, 31
	s_wait_kmcnt 0x0
	s_mul_i32 s14, s18, s2
	v_lshl_add_u64 v[4:5], s[16:17], 3, v[4:5]
	s_lshl_b64 s[4:5], s[4:5], 3
	s_lshl_b32 s2, s1, 3
	s_add_nc_u64 s[4:5], s[8:9], s[4:5]
	s_mul_i32 s8, s14, s7
	s_mov_b32 s9, s3
	v_cmp_gt_i32_e32 vcc_lo, s7, v9
	s_branch .LBB4_3
.LBB4_2:                                ;   in Loop: Header=BB4_3 Depth=1
	s_or_b32 exec_lo, exec_lo, s15
	v_dual_add_nc_u32 v8, s14, v8 :: v_dual_add_nc_u32 v2, s8, v2
	s_delay_alu instid0(VALU_DEP_1) | instskip(SKIP_1) | instid1(SALU_CYCLE_1)
	v_cmp_le_i32_e64 s0, s6, v8
	s_or_b32 s9, s0, s9
	s_and_not1_b32 exec_lo, exec_lo, s9
	s_cbranch_execz .LBB4_6
.LBB4_3:                                ; =>This Loop Header: Depth=1
                                        ;     Child Loop BB4_5 Depth 2
	s_and_saveexec_b32 s15, vcc_lo
	s_cbranch_execz .LBB4_2
; %bb.4:                                ;   in Loop: Header=BB4_3 Depth=1
	v_ashrrev_i32_e32 v3, 31, v2
	s_mov_b32 s16, 0
	s_delay_alu instid0(VALU_DEP_1)
	v_lshl_add_u64 v[6:7], v[2:3], 3, v[4:5]
	v_mov_b32_e32 v3, v9
.LBB4_5:                                ;   Parent Loop BB4_3 Depth=1
                                        ; =>  This Inner Loop Header: Depth=2
	s_delay_alu instid0(VALU_DEP_2) | instskip(NEXT) | instid1(VALU_DEP_2)
	v_add_nc_u64_e32 v[10:11], s[12:13], v[6:7]
	v_add_nc_u32_e32 v3, s1, v3
	s_delay_alu instid0(VALU_DEP_1)
	v_cmp_le_i32_e64 s0, s7, v3
	global_load_b32 v1, v[10:11], off
	s_wait_xcnt 0x0
	v_add_nc_u64_e32 v[10:11], s[10:11], v[6:7]
	v_add_nc_u64_e32 v[6:7], s[2:3], v[6:7]
	s_or_b32 s16, s0, s16
	global_load_b64 v[10:11], v[10:11], off
	s_wait_loadcnt 0x1
	v_ashrrev_i64 v[12:13], 29, v[0:1]
	s_delay_alu instid0(VALU_DEP_1)
	v_add_nc_u64_e32 v[12:13], s[4:5], v[12:13]
	s_wait_xcnt 0x0
	s_wait_loadcnt 0x0
	global_atomic_add_f64 v[12:13], v[10:11], off scope:SCOPE_DEV
	s_wait_xcnt 0x0
	s_and_not1_b32 exec_lo, exec_lo, s16
	s_cbranch_execnz .LBB4_5
	s_branch .LBB4_2
.LBB4_6:
	s_endpgm
	.section	.rodata,"a",@progbits
	.p2align	6, 0x0
	.amdhsa_kernel _ZN2at6native12_GLOBAL__N_126atomicadaptivemaxgradinputIdEEvPT_PKS3_PKliiii
		.amdhsa_group_segment_fixed_size 0
		.amdhsa_private_segment_fixed_size 0
		.amdhsa_kernarg_size 296
		.amdhsa_user_sgpr_count 2
		.amdhsa_user_sgpr_dispatch_ptr 0
		.amdhsa_user_sgpr_queue_ptr 0
		.amdhsa_user_sgpr_kernarg_segment_ptr 1
		.amdhsa_user_sgpr_dispatch_id 0
		.amdhsa_user_sgpr_kernarg_preload_length 0
		.amdhsa_user_sgpr_kernarg_preload_offset 0
		.amdhsa_user_sgpr_private_segment_size 0
		.amdhsa_wavefront_size32 1
		.amdhsa_uses_dynamic_stack 0
		.amdhsa_enable_private_segment 0
		.amdhsa_system_sgpr_workgroup_id_x 1
		.amdhsa_system_sgpr_workgroup_id_y 1
		.amdhsa_system_sgpr_workgroup_id_z 0
		.amdhsa_system_sgpr_workgroup_info 0
		.amdhsa_system_vgpr_workitem_id 1
		.amdhsa_next_free_vgpr 14
		.amdhsa_next_free_sgpr 19
		.amdhsa_named_barrier_count 0
		.amdhsa_reserve_vcc 1
		.amdhsa_float_round_mode_32 0
		.amdhsa_float_round_mode_16_64 0
		.amdhsa_float_denorm_mode_32 3
		.amdhsa_float_denorm_mode_16_64 3
		.amdhsa_fp16_overflow 0
		.amdhsa_memory_ordered 1
		.amdhsa_forward_progress 1
		.amdhsa_inst_pref_size 4
		.amdhsa_round_robin_scheduling 0
		.amdhsa_exception_fp_ieee_invalid_op 0
		.amdhsa_exception_fp_denorm_src 0
		.amdhsa_exception_fp_ieee_div_zero 0
		.amdhsa_exception_fp_ieee_overflow 0
		.amdhsa_exception_fp_ieee_underflow 0
		.amdhsa_exception_fp_ieee_inexact 0
		.amdhsa_exception_int_div_zero 0
	.end_amdhsa_kernel
	.section	.text._ZN2at6native12_GLOBAL__N_126atomicadaptivemaxgradinputIdEEvPT_PKS3_PKliiii,"axG",@progbits,_ZN2at6native12_GLOBAL__N_126atomicadaptivemaxgradinputIdEEvPT_PKS3_PKliiii,comdat
.Lfunc_end4:
	.size	_ZN2at6native12_GLOBAL__N_126atomicadaptivemaxgradinputIdEEvPT_PKS3_PKliiii, .Lfunc_end4-_ZN2at6native12_GLOBAL__N_126atomicadaptivemaxgradinputIdEEvPT_PKS3_PKliiii
                                        ; -- End function
	.set _ZN2at6native12_GLOBAL__N_126atomicadaptivemaxgradinputIdEEvPT_PKS3_PKliiii.num_vgpr, 14
	.set _ZN2at6native12_GLOBAL__N_126atomicadaptivemaxgradinputIdEEvPT_PKS3_PKliiii.num_agpr, 0
	.set _ZN2at6native12_GLOBAL__N_126atomicadaptivemaxgradinputIdEEvPT_PKS3_PKliiii.numbered_sgpr, 19
	.set _ZN2at6native12_GLOBAL__N_126atomicadaptivemaxgradinputIdEEvPT_PKS3_PKliiii.num_named_barrier, 0
	.set _ZN2at6native12_GLOBAL__N_126atomicadaptivemaxgradinputIdEEvPT_PKS3_PKliiii.private_seg_size, 0
	.set _ZN2at6native12_GLOBAL__N_126atomicadaptivemaxgradinputIdEEvPT_PKS3_PKliiii.uses_vcc, 1
	.set _ZN2at6native12_GLOBAL__N_126atomicadaptivemaxgradinputIdEEvPT_PKS3_PKliiii.uses_flat_scratch, 0
	.set _ZN2at6native12_GLOBAL__N_126atomicadaptivemaxgradinputIdEEvPT_PKS3_PKliiii.has_dyn_sized_stack, 0
	.set _ZN2at6native12_GLOBAL__N_126atomicadaptivemaxgradinputIdEEvPT_PKS3_PKliiii.has_recursion, 0
	.set _ZN2at6native12_GLOBAL__N_126atomicadaptivemaxgradinputIdEEvPT_PKS3_PKliiii.has_indirect_call, 0
	.section	.AMDGPU.csdata,"",@progbits
; Kernel info:
; codeLenInByte = 480
; TotalNumSgprs: 21
; NumVgprs: 14
; ScratchSize: 0
; MemoryBound: 0
; FloatMode: 240
; IeeeMode: 1
; LDSByteSize: 0 bytes/workgroup (compile time only)
; SGPRBlocks: 0
; VGPRBlocks: 0
; NumSGPRsForWavesPerEU: 21
; NumVGPRsForWavesPerEU: 14
; NamedBarCnt: 0
; Occupancy: 16
; WaveLimiterHint : 1
; COMPUTE_PGM_RSRC2:SCRATCH_EN: 0
; COMPUTE_PGM_RSRC2:USER_SGPR: 2
; COMPUTE_PGM_RSRC2:TRAP_HANDLER: 0
; COMPUTE_PGM_RSRC2:TGID_X_EN: 1
; COMPUTE_PGM_RSRC2:TGID_Y_EN: 1
; COMPUTE_PGM_RSRC2:TGID_Z_EN: 0
; COMPUTE_PGM_RSRC2:TIDIG_COMP_CNT: 1
	.section	.text._ZN2at6native12_GLOBAL__N_120adaptivemaxgradinputIdEEvPT_PKS3_PKliiii,"axG",@progbits,_ZN2at6native12_GLOBAL__N_120adaptivemaxgradinputIdEEvPT_PKS3_PKliiii,comdat
	.globl	_ZN2at6native12_GLOBAL__N_120adaptivemaxgradinputIdEEvPT_PKS3_PKliiii ; -- Begin function _ZN2at6native12_GLOBAL__N_120adaptivemaxgradinputIdEEvPT_PKS3_PKliiii
	.p2align	8
	.type	_ZN2at6native12_GLOBAL__N_120adaptivemaxgradinputIdEEvPT_PKS3_PKliiii,@function
_ZN2at6native12_GLOBAL__N_120adaptivemaxgradinputIdEEvPT_PKS3_PKliiii: ; @_ZN2at6native12_GLOBAL__N_120adaptivemaxgradinputIdEEvPT_PKS3_PKliiii
; %bb.0:
	s_clause 0x1
	s_load_b32 s15, s[0:1], 0x34
	s_load_b128 s[4:7], s[0:1], 0x18
	s_bfe_u32 s2, ttmp6, 0x40010
	s_bfe_u32 s3, ttmp6, 0x40004
	s_add_co_i32 s2, s2, 1
	s_getreg_b32 s14, hwreg(HW_REG_IB_STS2, 6, 4)
	s_mul_i32 s2, ttmp7, s2
	v_bfe_u32 v1, v0, 10, 10
	s_add_co_i32 s3, s3, s2
	s_mov_b32 s8, exec_lo
	s_wait_kmcnt 0x0
	s_lshr_b32 s2, s15, 16
	s_cmp_eq_u32 s14, 0
	s_cselect_b32 s3, ttmp7, s3
	s_delay_alu instid0(SALU_CYCLE_1) | instskip(SKIP_1) | instid1(VALU_DEP_1)
	v_mad_u32 v8, s3, s2, v1
	s_mov_b32 s3, 0
	v_cmpx_gt_i32_e64 s6, v8
	s_cbranch_execz .LBB5_6
; %bb.1:
	s_add_nc_u64 s[16:17], s[0:1], 40
	v_and_b32_e32 v9, 0x3ff, v0
	s_load_b32 s18, s[16:17], 0x4
	s_clause 0x1
	s_load_b128 s[8:11], s[0:1], 0x0
	s_load_b64 s[12:13], s[0:1], 0x10
	s_wait_xcnt 0x0
	s_bfe_u32 s0, ttmp6, 0x4000c
	s_and_b32 s1, s15, 0xffff
	s_add_co_i32 s0, s0, 1
	s_and_b32 s15, ttmp6, 15
	s_mul_i32 s0, ttmp9, s0
	v_dual_mov_b32 v0, 0 :: v_dual_lshlrev_b32 v4, 3, v9
	s_add_co_i32 s15, s15, s0
	s_cmp_eq_u32 s14, 0
	v_mul_lo_u32 v2, s7, v8
	s_cselect_b32 s0, ttmp9, s15
	v_mov_b32_e32 v5, v0
	s_mul_i32 s4, s4, s0
	s_mul_i32 s0, s6, s0
	;; [unrolled: 1-line block ×4, first 2 shown]
	s_ashr_i32 s5, s4, 31
	s_ashr_i32 s17, s16, 31
	s_wait_kmcnt 0x0
	s_mul_i32 s14, s18, s2
	v_lshl_add_u64 v[4:5], s[16:17], 3, v[4:5]
	s_lshl_b64 s[4:5], s[4:5], 3
	s_lshl_b32 s2, s1, 3
	s_add_nc_u64 s[4:5], s[8:9], s[4:5]
	s_mul_i32 s8, s14, s7
	s_mov_b32 s9, s3
	v_cmp_gt_i32_e32 vcc_lo, s7, v9
	s_branch .LBB5_3
.LBB5_2:                                ;   in Loop: Header=BB5_3 Depth=1
	s_or_b32 exec_lo, exec_lo, s15
	v_dual_add_nc_u32 v8, s14, v8 :: v_dual_add_nc_u32 v2, s8, v2
	s_delay_alu instid0(VALU_DEP_1) | instskip(SKIP_1) | instid1(SALU_CYCLE_1)
	v_cmp_le_i32_e64 s0, s6, v8
	s_or_b32 s9, s0, s9
	s_and_not1_b32 exec_lo, exec_lo, s9
	s_cbranch_execz .LBB5_6
.LBB5_3:                                ; =>This Loop Header: Depth=1
                                        ;     Child Loop BB5_5 Depth 2
	s_and_saveexec_b32 s15, vcc_lo
	s_cbranch_execz .LBB5_2
; %bb.4:                                ;   in Loop: Header=BB5_3 Depth=1
	v_ashrrev_i32_e32 v3, 31, v2
	s_mov_b32 s16, 0
	s_delay_alu instid0(VALU_DEP_1)
	v_lshl_add_u64 v[6:7], v[2:3], 3, v[4:5]
	v_mov_b32_e32 v3, v9
.LBB5_5:                                ;   Parent Loop BB5_3 Depth=1
                                        ; =>  This Inner Loop Header: Depth=2
	s_delay_alu instid0(VALU_DEP_2) | instskip(SKIP_2) | instid1(VALU_DEP_4)
	v_add_nc_u64_e32 v[10:11], s[12:13], v[6:7]
	v_add_nc_u64_e32 v[12:13], s[10:11], v[6:7]
	;; [unrolled: 1-line block ×3, first 2 shown]
	v_add_nc_u32_e32 v3, s1, v3
	global_load_b32 v1, v[10:11], off
	v_cmp_le_i32_e64 s0, s7, v3
	s_or_b32 s16, s0, s16
	s_wait_loadcnt 0x0
	s_wait_xcnt 0x0
	v_ashrrev_i64 v[10:11], 29, v[0:1]
	s_delay_alu instid0(VALU_DEP_1)
	v_add_nc_u64_e32 v[10:11], s[4:5], v[10:11]
	global_load_b64 v[14:15], v[12:13], off
	global_load_b64 v[16:17], v[10:11], off
	s_wait_loadcnt 0x0
	s_wait_xcnt 0x1
	v_add_f64_e32 v[12:13], v[14:15], v[16:17]
	global_store_b64 v[10:11], v[12:13], off
	s_wait_xcnt 0x0
	s_and_not1_b32 exec_lo, exec_lo, s16
	s_cbranch_execnz .LBB5_5
	s_branch .LBB5_2
.LBB5_6:
	s_endpgm
	.section	.rodata,"a",@progbits
	.p2align	6, 0x0
	.amdhsa_kernel _ZN2at6native12_GLOBAL__N_120adaptivemaxgradinputIdEEvPT_PKS3_PKliiii
		.amdhsa_group_segment_fixed_size 0
		.amdhsa_private_segment_fixed_size 0
		.amdhsa_kernarg_size 296
		.amdhsa_user_sgpr_count 2
		.amdhsa_user_sgpr_dispatch_ptr 0
		.amdhsa_user_sgpr_queue_ptr 0
		.amdhsa_user_sgpr_kernarg_segment_ptr 1
		.amdhsa_user_sgpr_dispatch_id 0
		.amdhsa_user_sgpr_kernarg_preload_length 0
		.amdhsa_user_sgpr_kernarg_preload_offset 0
		.amdhsa_user_sgpr_private_segment_size 0
		.amdhsa_wavefront_size32 1
		.amdhsa_uses_dynamic_stack 0
		.amdhsa_enable_private_segment 0
		.amdhsa_system_sgpr_workgroup_id_x 1
		.amdhsa_system_sgpr_workgroup_id_y 1
		.amdhsa_system_sgpr_workgroup_id_z 0
		.amdhsa_system_sgpr_workgroup_info 0
		.amdhsa_system_vgpr_workitem_id 1
		.amdhsa_next_free_vgpr 18
		.amdhsa_next_free_sgpr 19
		.amdhsa_named_barrier_count 0
		.amdhsa_reserve_vcc 1
		.amdhsa_float_round_mode_32 0
		.amdhsa_float_round_mode_16_64 0
		.amdhsa_float_denorm_mode_32 3
		.amdhsa_float_denorm_mode_16_64 3
		.amdhsa_fp16_overflow 0
		.amdhsa_memory_ordered 1
		.amdhsa_forward_progress 1
		.amdhsa_inst_pref_size 4
		.amdhsa_round_robin_scheduling 0
		.amdhsa_exception_fp_ieee_invalid_op 0
		.amdhsa_exception_fp_denorm_src 0
		.amdhsa_exception_fp_ieee_div_zero 0
		.amdhsa_exception_fp_ieee_overflow 0
		.amdhsa_exception_fp_ieee_underflow 0
		.amdhsa_exception_fp_ieee_inexact 0
		.amdhsa_exception_int_div_zero 0
	.end_amdhsa_kernel
	.section	.text._ZN2at6native12_GLOBAL__N_120adaptivemaxgradinputIdEEvPT_PKS3_PKliiii,"axG",@progbits,_ZN2at6native12_GLOBAL__N_120adaptivemaxgradinputIdEEvPT_PKS3_PKliiii,comdat
.Lfunc_end5:
	.size	_ZN2at6native12_GLOBAL__N_120adaptivemaxgradinputIdEEvPT_PKS3_PKliiii, .Lfunc_end5-_ZN2at6native12_GLOBAL__N_120adaptivemaxgradinputIdEEvPT_PKS3_PKliiii
                                        ; -- End function
	.set _ZN2at6native12_GLOBAL__N_120adaptivemaxgradinputIdEEvPT_PKS3_PKliiii.num_vgpr, 18
	.set _ZN2at6native12_GLOBAL__N_120adaptivemaxgradinputIdEEvPT_PKS3_PKliiii.num_agpr, 0
	.set _ZN2at6native12_GLOBAL__N_120adaptivemaxgradinputIdEEvPT_PKS3_PKliiii.numbered_sgpr, 19
	.set _ZN2at6native12_GLOBAL__N_120adaptivemaxgradinputIdEEvPT_PKS3_PKliiii.num_named_barrier, 0
	.set _ZN2at6native12_GLOBAL__N_120adaptivemaxgradinputIdEEvPT_PKS3_PKliiii.private_seg_size, 0
	.set _ZN2at6native12_GLOBAL__N_120adaptivemaxgradinputIdEEvPT_PKS3_PKliiii.uses_vcc, 1
	.set _ZN2at6native12_GLOBAL__N_120adaptivemaxgradinputIdEEvPT_PKS3_PKliiii.uses_flat_scratch, 0
	.set _ZN2at6native12_GLOBAL__N_120adaptivemaxgradinputIdEEvPT_PKS3_PKliiii.has_dyn_sized_stack, 0
	.set _ZN2at6native12_GLOBAL__N_120adaptivemaxgradinputIdEEvPT_PKS3_PKliiii.has_recursion, 0
	.set _ZN2at6native12_GLOBAL__N_120adaptivemaxgradinputIdEEvPT_PKS3_PKliiii.has_indirect_call, 0
	.section	.AMDGPU.csdata,"",@progbits
; Kernel info:
; codeLenInByte = 492
; TotalNumSgprs: 21
; NumVgprs: 18
; ScratchSize: 0
; MemoryBound: 0
; FloatMode: 240
; IeeeMode: 1
; LDSByteSize: 0 bytes/workgroup (compile time only)
; SGPRBlocks: 0
; VGPRBlocks: 1
; NumSGPRsForWavesPerEU: 21
; NumVGPRsForWavesPerEU: 18
; NamedBarCnt: 0
; Occupancy: 16
; WaveLimiterHint : 1
; COMPUTE_PGM_RSRC2:SCRATCH_EN: 0
; COMPUTE_PGM_RSRC2:USER_SGPR: 2
; COMPUTE_PGM_RSRC2:TRAP_HANDLER: 0
; COMPUTE_PGM_RSRC2:TGID_X_EN: 1
; COMPUTE_PGM_RSRC2:TGID_Y_EN: 1
; COMPUTE_PGM_RSRC2:TGID_Z_EN: 0
; COMPUTE_PGM_RSRC2:TIDIG_COMP_CNT: 1
	.section	.text._ZN2at6native12_GLOBAL__N_126atomicadaptivemaxgradinputIfEEvPT_PKS3_PKliiii,"axG",@progbits,_ZN2at6native12_GLOBAL__N_126atomicadaptivemaxgradinputIfEEvPT_PKS3_PKliiii,comdat
	.globl	_ZN2at6native12_GLOBAL__N_126atomicadaptivemaxgradinputIfEEvPT_PKS3_PKliiii ; -- Begin function _ZN2at6native12_GLOBAL__N_126atomicadaptivemaxgradinputIfEEvPT_PKS3_PKliiii
	.p2align	8
	.type	_ZN2at6native12_GLOBAL__N_126atomicadaptivemaxgradinputIfEEvPT_PKS3_PKliiii,@function
_ZN2at6native12_GLOBAL__N_126atomicadaptivemaxgradinputIfEEvPT_PKS3_PKliiii: ; @_ZN2at6native12_GLOBAL__N_126atomicadaptivemaxgradinputIfEEvPT_PKS3_PKliiii
; %bb.0:
	s_clause 0x1
	s_load_b32 s12, s[0:1], 0x34
	s_load_b128 s[4:7], s[0:1], 0x18
	s_bfe_u32 s2, ttmp6, 0x40010
	s_bfe_u32 s3, ttmp6, 0x40004
	s_add_co_i32 s2, s2, 1
	s_getreg_b32 s13, hwreg(HW_REG_IB_STS2, 6, 4)
	s_mul_i32 s2, ttmp7, s2
	v_bfe_u32 v1, v0, 10, 10
	s_add_co_i32 s3, s3, s2
	s_mov_b32 s8, exec_lo
	s_wait_kmcnt 0x0
	s_lshr_b32 s2, s12, 16
	s_cmp_eq_u32 s13, 0
	s_cselect_b32 s3, ttmp7, s3
	s_delay_alu instid0(SALU_CYCLE_1) | instskip(SKIP_1) | instid1(VALU_DEP_1)
	v_mad_u32 v12, s3, s2, v1
	s_mov_b32 s3, 0
	v_cmpx_gt_i32_e64 s6, v12
	s_cbranch_execz .LBB6_6
; %bb.1:
	s_bfe_u32 s16, ttmp6, 0x4000c
	s_add_nc_u64 s[14:15], s[0:1], 40
	s_add_co_i32 s16, s16, 1
	s_load_b128 s[8:11], s[0:1], 0x0
	s_load_b32 s18, s[14:15], 0x4
	s_wait_xcnt 0x0
	s_and_b32 s14, ttmp6, 15
	s_mul_i32 s15, ttmp9, s16
	s_and_b32 s12, s12, 0xffff
	s_add_co_i32 s16, s14, s15
	s_load_b64 s[14:15], s[0:1], 0x10
	s_cmp_eq_u32 s13, 0
	v_and_b32_e32 v13, 0x3ff, v0
	s_wait_xcnt 0x0
	s_cselect_b32 s1, ttmp9, s16
	v_mov_b32_e32 v0, 0
	s_mul_i32 s0, s4, s1
	s_mul_i32 s4, s6, s1
	;; [unrolled: 1-line block ×4, first 2 shown]
	s_ashr_i32 s1, s0, 31
	s_ashr_i32 s17, s16, 31
	s_lshl_b64 s[0:1], s[0:1], 2
	v_dual_mov_b32 v5, v0 :: v_dual_lshlrev_b32 v4, 2, v13
	v_dual_mov_b32 v7, v0 :: v_dual_lshlrev_b32 v6, 3, v13
	s_wait_kmcnt 0x0
	s_add_nc_u64 s[4:5], s[8:9], s[0:1]
	s_lshl_b64 s[8:9], s[16:17], 2
	v_mul_lo_u32 v2, s7, v12
	s_lshl_b64 s[16:17], s[16:17], 3
	s_add_nc_u64 s[8:9], s[10:11], s[8:9]
	s_add_nc_u64 s[10:11], s[14:15], s[16:17]
	v_add_nc_u64_e32 v[4:5], s[8:9], v[4:5]
	v_add_nc_u64_e32 v[6:7], s[10:11], v[6:7]
	s_mul_i32 s1, s18, s2
	s_lshl_b32 s2, s12, 2
	s_mul_i32 s10, s1, s7
	s_lshl_b32 s8, s12, 3
	s_mov_b32 s9, s3
	s_mov_b32 s11, s3
	v_cmp_gt_i32_e32 vcc_lo, s7, v13
	s_branch .LBB6_3
.LBB6_2:                                ;   in Loop: Header=BB6_3 Depth=1
	s_or_b32 exec_lo, exec_lo, s13
	v_dual_add_nc_u32 v12, s1, v12 :: v_dual_add_nc_u32 v2, s10, v2
	s_delay_alu instid0(VALU_DEP_1) | instskip(SKIP_1) | instid1(SALU_CYCLE_1)
	v_cmp_le_i32_e64 s0, s6, v12
	s_or_b32 s11, s0, s11
	s_and_not1_b32 exec_lo, exec_lo, s11
	s_cbranch_execz .LBB6_6
.LBB6_3:                                ; =>This Loop Header: Depth=1
                                        ;     Child Loop BB6_5 Depth 2
	s_and_saveexec_b32 s13, vcc_lo
	s_cbranch_execz .LBB6_2
; %bb.4:                                ;   in Loop: Header=BB6_3 Depth=1
	v_ashrrev_i32_e32 v3, 31, v2
	s_mov_b32 s14, 0
	s_delay_alu instid0(VALU_DEP_1)
	v_lshl_add_u64 v[8:9], v[2:3], 2, v[4:5]
	v_lshl_add_u64 v[10:11], v[2:3], 3, v[6:7]
	v_mov_b32_e32 v3, v13
.LBB6_5:                                ;   Parent Loop BB6_3 Depth=1
                                        ; =>  This Inner Loop Header: Depth=2
	global_load_b32 v1, v[10:11], off
	global_load_b32 v16, v[8:9], off
	v_add_nc_u32_e32 v3, s12, v3
	s_wait_xcnt 0x0
	v_add_nc_u64_e32 v[8:9], s[2:3], v[8:9]
	v_add_nc_u64_e32 v[10:11], s[8:9], v[10:11]
	s_delay_alu instid0(VALU_DEP_3) | instskip(SKIP_3) | instid1(VALU_DEP_1)
	v_cmp_le_i32_e64 s0, s7, v3
	s_or_b32 s14, s0, s14
	s_wait_loadcnt 0x1
	v_ashrrev_i64 v[14:15], 30, v[0:1]
	v_add_nc_u64_e32 v[14:15], s[4:5], v[14:15]
	s_wait_loadcnt 0x0
	global_atomic_add_f32 v[14:15], v16, off scope:SCOPE_DEV
	s_wait_xcnt 0x0
	s_and_not1_b32 exec_lo, exec_lo, s14
	s_cbranch_execnz .LBB6_5
	s_branch .LBB6_2
.LBB6_6:
	s_endpgm
	.section	.rodata,"a",@progbits
	.p2align	6, 0x0
	.amdhsa_kernel _ZN2at6native12_GLOBAL__N_126atomicadaptivemaxgradinputIfEEvPT_PKS3_PKliiii
		.amdhsa_group_segment_fixed_size 0
		.amdhsa_private_segment_fixed_size 0
		.amdhsa_kernarg_size 296
		.amdhsa_user_sgpr_count 2
		.amdhsa_user_sgpr_dispatch_ptr 0
		.amdhsa_user_sgpr_queue_ptr 0
		.amdhsa_user_sgpr_kernarg_segment_ptr 1
		.amdhsa_user_sgpr_dispatch_id 0
		.amdhsa_user_sgpr_kernarg_preload_length 0
		.amdhsa_user_sgpr_kernarg_preload_offset 0
		.amdhsa_user_sgpr_private_segment_size 0
		.amdhsa_wavefront_size32 1
		.amdhsa_uses_dynamic_stack 0
		.amdhsa_enable_private_segment 0
		.amdhsa_system_sgpr_workgroup_id_x 1
		.amdhsa_system_sgpr_workgroup_id_y 1
		.amdhsa_system_sgpr_workgroup_id_z 0
		.amdhsa_system_sgpr_workgroup_info 0
		.amdhsa_system_vgpr_workitem_id 1
		.amdhsa_next_free_vgpr 17
		.amdhsa_next_free_sgpr 19
		.amdhsa_named_barrier_count 0
		.amdhsa_reserve_vcc 1
		.amdhsa_float_round_mode_32 0
		.amdhsa_float_round_mode_16_64 0
		.amdhsa_float_denorm_mode_32 3
		.amdhsa_float_denorm_mode_16_64 3
		.amdhsa_fp16_overflow 0
		.amdhsa_memory_ordered 1
		.amdhsa_forward_progress 1
		.amdhsa_inst_pref_size 4
		.amdhsa_round_robin_scheduling 0
		.amdhsa_exception_fp_ieee_invalid_op 0
		.amdhsa_exception_fp_denorm_src 0
		.amdhsa_exception_fp_ieee_div_zero 0
		.amdhsa_exception_fp_ieee_overflow 0
		.amdhsa_exception_fp_ieee_underflow 0
		.amdhsa_exception_fp_ieee_inexact 0
		.amdhsa_exception_int_div_zero 0
	.end_amdhsa_kernel
	.section	.text._ZN2at6native12_GLOBAL__N_126atomicadaptivemaxgradinputIfEEvPT_PKS3_PKliiii,"axG",@progbits,_ZN2at6native12_GLOBAL__N_126atomicadaptivemaxgradinputIfEEvPT_PKS3_PKliiii,comdat
.Lfunc_end6:
	.size	_ZN2at6native12_GLOBAL__N_126atomicadaptivemaxgradinputIfEEvPT_PKS3_PKliiii, .Lfunc_end6-_ZN2at6native12_GLOBAL__N_126atomicadaptivemaxgradinputIfEEvPT_PKS3_PKliiii
                                        ; -- End function
	.set _ZN2at6native12_GLOBAL__N_126atomicadaptivemaxgradinputIfEEvPT_PKS3_PKliiii.num_vgpr, 17
	.set _ZN2at6native12_GLOBAL__N_126atomicadaptivemaxgradinputIfEEvPT_PKS3_PKliiii.num_agpr, 0
	.set _ZN2at6native12_GLOBAL__N_126atomicadaptivemaxgradinputIfEEvPT_PKS3_PKliiii.numbered_sgpr, 19
	.set _ZN2at6native12_GLOBAL__N_126atomicadaptivemaxgradinputIfEEvPT_PKS3_PKliiii.num_named_barrier, 0
	.set _ZN2at6native12_GLOBAL__N_126atomicadaptivemaxgradinputIfEEvPT_PKS3_PKliiii.private_seg_size, 0
	.set _ZN2at6native12_GLOBAL__N_126atomicadaptivemaxgradinputIfEEvPT_PKS3_PKliiii.uses_vcc, 1
	.set _ZN2at6native12_GLOBAL__N_126atomicadaptivemaxgradinputIfEEvPT_PKS3_PKliiii.uses_flat_scratch, 0
	.set _ZN2at6native12_GLOBAL__N_126atomicadaptivemaxgradinputIfEEvPT_PKS3_PKliiii.has_dyn_sized_stack, 0
	.set _ZN2at6native12_GLOBAL__N_126atomicadaptivemaxgradinputIfEEvPT_PKS3_PKliiii.has_recursion, 0
	.set _ZN2at6native12_GLOBAL__N_126atomicadaptivemaxgradinputIfEEvPT_PKS3_PKliiii.has_indirect_call, 0
	.section	.AMDGPU.csdata,"",@progbits
; Kernel info:
; codeLenInByte = 500
; TotalNumSgprs: 21
; NumVgprs: 17
; ScratchSize: 0
; MemoryBound: 0
; FloatMode: 240
; IeeeMode: 1
; LDSByteSize: 0 bytes/workgroup (compile time only)
; SGPRBlocks: 0
; VGPRBlocks: 1
; NumSGPRsForWavesPerEU: 21
; NumVGPRsForWavesPerEU: 17
; NamedBarCnt: 0
; Occupancy: 16
; WaveLimiterHint : 1
; COMPUTE_PGM_RSRC2:SCRATCH_EN: 0
; COMPUTE_PGM_RSRC2:USER_SGPR: 2
; COMPUTE_PGM_RSRC2:TRAP_HANDLER: 0
; COMPUTE_PGM_RSRC2:TGID_X_EN: 1
; COMPUTE_PGM_RSRC2:TGID_Y_EN: 1
; COMPUTE_PGM_RSRC2:TGID_Z_EN: 0
; COMPUTE_PGM_RSRC2:TIDIG_COMP_CNT: 1
	.section	.text._ZN2at6native12_GLOBAL__N_120adaptivemaxgradinputIfEEvPT_PKS3_PKliiii,"axG",@progbits,_ZN2at6native12_GLOBAL__N_120adaptivemaxgradinputIfEEvPT_PKS3_PKliiii,comdat
	.globl	_ZN2at6native12_GLOBAL__N_120adaptivemaxgradinputIfEEvPT_PKS3_PKliiii ; -- Begin function _ZN2at6native12_GLOBAL__N_120adaptivemaxgradinputIfEEvPT_PKS3_PKliiii
	.p2align	8
	.type	_ZN2at6native12_GLOBAL__N_120adaptivemaxgradinputIfEEvPT_PKS3_PKliiii,@function
_ZN2at6native12_GLOBAL__N_120adaptivemaxgradinputIfEEvPT_PKS3_PKliiii: ; @_ZN2at6native12_GLOBAL__N_120adaptivemaxgradinputIfEEvPT_PKS3_PKliiii
; %bb.0:
	s_clause 0x1
	s_load_b32 s12, s[0:1], 0x34
	s_load_b128 s[4:7], s[0:1], 0x18
	s_bfe_u32 s2, ttmp6, 0x40010
	s_bfe_u32 s3, ttmp6, 0x40004
	s_add_co_i32 s2, s2, 1
	s_getreg_b32 s13, hwreg(HW_REG_IB_STS2, 6, 4)
	s_mul_i32 s2, ttmp7, s2
	v_bfe_u32 v1, v0, 10, 10
	s_add_co_i32 s3, s3, s2
	s_mov_b32 s8, exec_lo
	s_wait_kmcnt 0x0
	s_lshr_b32 s2, s12, 16
	s_cmp_eq_u32 s13, 0
	s_cselect_b32 s3, ttmp7, s3
	s_delay_alu instid0(SALU_CYCLE_1) | instskip(SKIP_1) | instid1(VALU_DEP_1)
	v_mad_u32 v12, s3, s2, v1
	s_mov_b32 s3, 0
	v_cmpx_gt_i32_e64 s6, v12
	s_cbranch_execz .LBB7_6
; %bb.1:
	s_bfe_u32 s16, ttmp6, 0x4000c
	s_add_nc_u64 s[14:15], s[0:1], 40
	s_add_co_i32 s16, s16, 1
	s_load_b128 s[8:11], s[0:1], 0x0
	s_load_b32 s18, s[14:15], 0x4
	s_wait_xcnt 0x0
	s_and_b32 s14, ttmp6, 15
	s_mul_i32 s15, ttmp9, s16
	s_and_b32 s12, s12, 0xffff
	s_add_co_i32 s16, s14, s15
	s_load_b64 s[14:15], s[0:1], 0x10
	s_cmp_eq_u32 s13, 0
	v_and_b32_e32 v13, 0x3ff, v0
	s_wait_xcnt 0x0
	s_cselect_b32 s1, ttmp9, s16
	v_mov_b32_e32 v0, 0
	s_mul_i32 s0, s4, s1
	s_mul_i32 s4, s6, s1
	;; [unrolled: 1-line block ×4, first 2 shown]
	s_ashr_i32 s1, s0, 31
	s_ashr_i32 s17, s16, 31
	s_lshl_b64 s[0:1], s[0:1], 2
	v_dual_mov_b32 v5, v0 :: v_dual_lshlrev_b32 v4, 2, v13
	v_dual_mov_b32 v7, v0 :: v_dual_lshlrev_b32 v6, 3, v13
	s_wait_kmcnt 0x0
	s_add_nc_u64 s[4:5], s[8:9], s[0:1]
	s_lshl_b64 s[8:9], s[16:17], 2
	v_mul_lo_u32 v2, s7, v12
	s_lshl_b64 s[16:17], s[16:17], 3
	s_add_nc_u64 s[8:9], s[10:11], s[8:9]
	s_add_nc_u64 s[10:11], s[14:15], s[16:17]
	v_add_nc_u64_e32 v[4:5], s[8:9], v[4:5]
	v_add_nc_u64_e32 v[6:7], s[10:11], v[6:7]
	s_mul_i32 s1, s18, s2
	s_lshl_b32 s2, s12, 2
	s_mul_i32 s10, s1, s7
	s_lshl_b32 s8, s12, 3
	s_mov_b32 s9, s3
	s_mov_b32 s11, s3
	v_cmp_gt_i32_e32 vcc_lo, s7, v13
	s_branch .LBB7_3
.LBB7_2:                                ;   in Loop: Header=BB7_3 Depth=1
	s_or_b32 exec_lo, exec_lo, s13
	v_dual_add_nc_u32 v12, s1, v12 :: v_dual_add_nc_u32 v2, s10, v2
	s_delay_alu instid0(VALU_DEP_1) | instskip(SKIP_1) | instid1(SALU_CYCLE_1)
	v_cmp_le_i32_e64 s0, s6, v12
	s_or_b32 s11, s0, s11
	s_and_not1_b32 exec_lo, exec_lo, s11
	s_cbranch_execz .LBB7_6
.LBB7_3:                                ; =>This Loop Header: Depth=1
                                        ;     Child Loop BB7_5 Depth 2
	s_and_saveexec_b32 s13, vcc_lo
	s_cbranch_execz .LBB7_2
; %bb.4:                                ;   in Loop: Header=BB7_3 Depth=1
	v_ashrrev_i32_e32 v3, 31, v2
	s_mov_b32 s14, 0
	s_delay_alu instid0(VALU_DEP_1)
	v_lshl_add_u64 v[8:9], v[2:3], 2, v[4:5]
	v_lshl_add_u64 v[10:11], v[2:3], 3, v[6:7]
	v_mov_b32_e32 v3, v13
.LBB7_5:                                ;   Parent Loop BB7_3 Depth=1
                                        ; =>  This Inner Loop Header: Depth=2
	global_load_b32 v1, v[10:11], off
	s_wait_xcnt 0x0
	v_add_nc_u64_e32 v[10:11], s[8:9], v[10:11]
	s_wait_loadcnt 0x0
	v_ashrrev_i64 v[14:15], 30, v[0:1]
	s_delay_alu instid0(VALU_DEP_1)
	v_add_nc_u64_e32 v[14:15], s[4:5], v[14:15]
	global_load_b32 v1, v[8:9], off
	global_load_b32 v16, v[14:15], off
	v_add_nc_u32_e32 v3, s12, v3
	s_wait_xcnt 0x1
	v_add_nc_u64_e32 v[8:9], s[2:3], v[8:9]
	s_wait_loadcnt 0x0
	v_add_f32_e32 v1, v1, v16
	v_cmp_le_i32_e64 s0, s7, v3
	global_store_b32 v[14:15], v1, off
	s_or_b32 s14, s0, s14
	s_wait_xcnt 0x0
	s_and_not1_b32 exec_lo, exec_lo, s14
	s_cbranch_execnz .LBB7_5
	s_branch .LBB7_2
.LBB7_6:
	s_endpgm
	.section	.rodata,"a",@progbits
	.p2align	6, 0x0
	.amdhsa_kernel _ZN2at6native12_GLOBAL__N_120adaptivemaxgradinputIfEEvPT_PKS3_PKliiii
		.amdhsa_group_segment_fixed_size 0
		.amdhsa_private_segment_fixed_size 0
		.amdhsa_kernarg_size 296
		.amdhsa_user_sgpr_count 2
		.amdhsa_user_sgpr_dispatch_ptr 0
		.amdhsa_user_sgpr_queue_ptr 0
		.amdhsa_user_sgpr_kernarg_segment_ptr 1
		.amdhsa_user_sgpr_dispatch_id 0
		.amdhsa_user_sgpr_kernarg_preload_length 0
		.amdhsa_user_sgpr_kernarg_preload_offset 0
		.amdhsa_user_sgpr_private_segment_size 0
		.amdhsa_wavefront_size32 1
		.amdhsa_uses_dynamic_stack 0
		.amdhsa_enable_private_segment 0
		.amdhsa_system_sgpr_workgroup_id_x 1
		.amdhsa_system_sgpr_workgroup_id_y 1
		.amdhsa_system_sgpr_workgroup_id_z 0
		.amdhsa_system_sgpr_workgroup_info 0
		.amdhsa_system_vgpr_workitem_id 1
		.amdhsa_next_free_vgpr 17
		.amdhsa_next_free_sgpr 19
		.amdhsa_named_barrier_count 0
		.amdhsa_reserve_vcc 1
		.amdhsa_float_round_mode_32 0
		.amdhsa_float_round_mode_16_64 0
		.amdhsa_float_denorm_mode_32 3
		.amdhsa_float_denorm_mode_16_64 3
		.amdhsa_fp16_overflow 0
		.amdhsa_memory_ordered 1
		.amdhsa_forward_progress 1
		.amdhsa_inst_pref_size 5
		.amdhsa_round_robin_scheduling 0
		.amdhsa_exception_fp_ieee_invalid_op 0
		.amdhsa_exception_fp_denorm_src 0
		.amdhsa_exception_fp_ieee_div_zero 0
		.amdhsa_exception_fp_ieee_overflow 0
		.amdhsa_exception_fp_ieee_underflow 0
		.amdhsa_exception_fp_ieee_inexact 0
		.amdhsa_exception_int_div_zero 0
	.end_amdhsa_kernel
	.section	.text._ZN2at6native12_GLOBAL__N_120adaptivemaxgradinputIfEEvPT_PKS3_PKliiii,"axG",@progbits,_ZN2at6native12_GLOBAL__N_120adaptivemaxgradinputIfEEvPT_PKS3_PKliiii,comdat
.Lfunc_end7:
	.size	_ZN2at6native12_GLOBAL__N_120adaptivemaxgradinputIfEEvPT_PKS3_PKliiii, .Lfunc_end7-_ZN2at6native12_GLOBAL__N_120adaptivemaxgradinputIfEEvPT_PKS3_PKliiii
                                        ; -- End function
	.set _ZN2at6native12_GLOBAL__N_120adaptivemaxgradinputIfEEvPT_PKS3_PKliiii.num_vgpr, 17
	.set _ZN2at6native12_GLOBAL__N_120adaptivemaxgradinputIfEEvPT_PKS3_PKliiii.num_agpr, 0
	.set _ZN2at6native12_GLOBAL__N_120adaptivemaxgradinputIfEEvPT_PKS3_PKliiii.numbered_sgpr, 19
	.set _ZN2at6native12_GLOBAL__N_120adaptivemaxgradinputIfEEvPT_PKS3_PKliiii.num_named_barrier, 0
	.set _ZN2at6native12_GLOBAL__N_120adaptivemaxgradinputIfEEvPT_PKS3_PKliiii.private_seg_size, 0
	.set _ZN2at6native12_GLOBAL__N_120adaptivemaxgradinputIfEEvPT_PKS3_PKliiii.uses_vcc, 1
	.set _ZN2at6native12_GLOBAL__N_120adaptivemaxgradinputIfEEvPT_PKS3_PKliiii.uses_flat_scratch, 0
	.set _ZN2at6native12_GLOBAL__N_120adaptivemaxgradinputIfEEvPT_PKS3_PKliiii.has_dyn_sized_stack, 0
	.set _ZN2at6native12_GLOBAL__N_120adaptivemaxgradinputIfEEvPT_PKS3_PKliiii.has_recursion, 0
	.set _ZN2at6native12_GLOBAL__N_120adaptivemaxgradinputIfEEvPT_PKS3_PKliiii.has_indirect_call, 0
	.section	.AMDGPU.csdata,"",@progbits
; Kernel info:
; codeLenInByte = 520
; TotalNumSgprs: 21
; NumVgprs: 17
; ScratchSize: 0
; MemoryBound: 0
; FloatMode: 240
; IeeeMode: 1
; LDSByteSize: 0 bytes/workgroup (compile time only)
; SGPRBlocks: 0
; VGPRBlocks: 1
; NumSGPRsForWavesPerEU: 21
; NumVGPRsForWavesPerEU: 17
; NamedBarCnt: 0
; Occupancy: 16
; WaveLimiterHint : 1
; COMPUTE_PGM_RSRC2:SCRATCH_EN: 0
; COMPUTE_PGM_RSRC2:USER_SGPR: 2
; COMPUTE_PGM_RSRC2:TRAP_HANDLER: 0
; COMPUTE_PGM_RSRC2:TGID_X_EN: 1
; COMPUTE_PGM_RSRC2:TGID_Y_EN: 1
; COMPUTE_PGM_RSRC2:TGID_Z_EN: 0
; COMPUTE_PGM_RSRC2:TIDIG_COMP_CNT: 1
	.section	.text._ZN2at6native12_GLOBAL__N_126atomicadaptivemaxgradinputIN3c104HalfEEEvPT_PKS5_PKliiii,"axG",@progbits,_ZN2at6native12_GLOBAL__N_126atomicadaptivemaxgradinputIN3c104HalfEEEvPT_PKS5_PKliiii,comdat
	.globl	_ZN2at6native12_GLOBAL__N_126atomicadaptivemaxgradinputIN3c104HalfEEEvPT_PKS5_PKliiii ; -- Begin function _ZN2at6native12_GLOBAL__N_126atomicadaptivemaxgradinputIN3c104HalfEEEvPT_PKS5_PKliiii
	.p2align	8
	.type	_ZN2at6native12_GLOBAL__N_126atomicadaptivemaxgradinputIN3c104HalfEEEvPT_PKS5_PKliiii,@function
_ZN2at6native12_GLOBAL__N_126atomicadaptivemaxgradinputIN3c104HalfEEEvPT_PKS5_PKliiii: ; @_ZN2at6native12_GLOBAL__N_126atomicadaptivemaxgradinputIN3c104HalfEEEvPT_PKS5_PKliiii
; %bb.0:
	s_clause 0x1
	s_load_b32 s8, s[0:1], 0x34
	s_load_b128 s[4:7], s[0:1], 0x18
	s_bfe_u32 s2, ttmp6, 0x40010
	s_bfe_u32 s3, ttmp6, 0x40004
	s_add_co_i32 s2, s2, 1
	s_getreg_b32 s9, hwreg(HW_REG_IB_STS2, 6, 4)
	s_mul_i32 s2, ttmp7, s2
	v_bfe_u32 v1, v0, 10, 10
	s_add_co_i32 s3, s3, s2
	s_mov_b32 s10, exec_lo
	s_wait_kmcnt 0x0
	s_lshr_b32 s2, s8, 16
	s_cmp_eq_u32 s9, 0
	s_cselect_b32 s3, ttmp7, s3
	s_delay_alu instid0(SALU_CYCLE_1) | instskip(SKIP_1) | instid1(VALU_DEP_1)
	v_mad_u32 v10, s3, s2, v1
	s_mov_b32 s3, 0
	v_cmpx_gt_i32_e64 s6, v10
	s_cbranch_execz .LBB8_12
; %bb.1:
	s_add_nc_u64 s[10:11], s[0:1], 40
	s_load_b128 s[16:19], s[0:1], 0x0
	s_load_b32 s13, s[10:11], 0x4
	s_wait_xcnt 0x0
	s_bfe_u32 s10, ttmp6, 0x4000c
	s_load_b64 s[0:1], s[0:1], 0x10
	s_add_co_i32 s10, s10, 1
	s_and_b32 s11, ttmp6, 15
	s_mul_i32 s10, ttmp9, s10
	s_and_b32 s12, s8, 0xffff
	s_add_co_i32 s11, s11, s10
	s_cmp_eq_u32 s9, 0
	v_and_b32_e32 v11, 0x3ff, v0
	s_cselect_b32 s8, ttmp9, s11
	v_mov_b32_e32 v1, 0
	s_mul_i32 s9, s6, s8
	s_mul_i32 s4, s4, s8
	;; [unrolled: 1-line block ×4, first 2 shown]
	s_ashr_i32 s9, s8, 31
	s_ashr_i32 s5, s4, 31
	s_lshl_b64 s[10:11], s[8:9], 1
	s_lshl_b64 s[14:15], s[4:5], 1
	s_wait_kmcnt 0x0
	s_add_nc_u64 s[4:5], s[18:19], s[10:11]
	s_lshl_b64 s[10:11], s[8:9], 3
	s_mul_i32 s13, s13, s2
	s_add_nc_u64 s[8:9], s[16:17], s[14:15]
	s_add_nc_u64 s[10:11], s[0:1], s[10:11]
	v_cmp_gt_i32_e32 vcc_lo, s7, v11
	s_branch .LBB8_3
.LBB8_2:                                ;   in Loop: Header=BB8_3 Depth=1
	s_or_b32 exec_lo, exec_lo, s14
	v_add_nc_u32_e32 v10, s13, v10
	s_delay_alu instid0(VALU_DEP_1) | instskip(SKIP_1) | instid1(SALU_CYCLE_1)
	v_cmp_le_i32_e64 s0, s6, v10
	s_or_b32 s3, s0, s3
	s_and_not1_b32 exec_lo, exec_lo, s3
	s_cbranch_execz .LBB8_12
.LBB8_3:                                ; =>This Loop Header: Depth=1
                                        ;     Child Loop BB8_6 Depth 2
                                        ;       Child Loop BB8_8 Depth 3
	s_and_saveexec_b32 s14, vcc_lo
	s_cbranch_execz .LBB8_2
; %bb.4:                                ;   in Loop: Header=BB8_3 Depth=1
	v_mul_lo_u32 v4, v10, s7
	s_mov_b32 s15, 0
	s_delay_alu instid0(VALU_DEP_1) | instskip(NEXT) | instid1(VALU_DEP_1)
	v_dual_mov_b32 v0, v11 :: v_dual_ashrrev_i32 v5, 31, v4
	v_lshl_add_u64 v[2:3], v[4:5], 1, s[4:5]
	v_lshl_add_u64 v[4:5], v[4:5], 3, s[10:11]
	s_branch .LBB8_6
.LBB8_5:                                ;   in Loop: Header=BB8_6 Depth=2
	s_or_b32 exec_lo, exec_lo, s16
	v_add_nc_u32_e32 v0, s12, v0
	s_delay_alu instid0(VALU_DEP_1) | instskip(SKIP_1) | instid1(SALU_CYCLE_1)
	v_cmp_le_i32_e64 s0, s7, v0
	s_or_b32 s15, s0, s15
	s_and_not1_b32 exec_lo, exec_lo, s15
	s_cbranch_execz .LBB8_2
.LBB8_6:                                ;   Parent Loop BB8_3 Depth=1
                                        ; =>  This Loop Header: Depth=2
                                        ;       Child Loop BB8_8 Depth 3
	s_delay_alu instid0(VALU_DEP_1) | instskip(NEXT) | instid1(VALU_DEP_3)
	v_lshl_add_u64 v[6:7], v[0:1], 3, v[4:5]
	v_lshl_add_u64 v[16:17], v[0:1], 1, v[2:3]
	s_mov_b32 s16, 0
	v_mov_b32_e32 v15, v1
	global_load_b32 v7, v[6:7], off
	s_wait_xcnt 0x0
	v_mov_b32_e32 v6, v1
	s_wait_loadcnt 0x0
	s_delay_alu instid0(VALU_DEP_1) | instskip(NEXT) | instid1(VALU_DEP_1)
	v_ashrrev_i64 v[6:7], 31, v[6:7]
	v_add_nc_u64_e32 v[6:7], s[8:9], v[6:7]
	s_delay_alu instid0(VALU_DEP_1) | instskip(NEXT) | instid1(VALU_DEP_1)
	v_and_b32_e32 v14, 2, v6
	v_sub_nc_u64_e32 v[8:9], 0, v[14:15]
	v_cmp_eq_u64_e64 s0, 0, v[14:15]
	v_cmp_ne_u32_e64 s1, 0, v14
	s_delay_alu instid0(VALU_DEP_3)
	v_add_nc_u64_e32 v[6:7], v[6:7], v[8:9]
	global_load_u16 v12, v[16:17], off
	global_load_b32 v9, v[6:7], off
	s_branch .LBB8_8
.LBB8_7:                                ;   in Loop: Header=BB8_8 Depth=3
	s_or_b32 exec_lo, exec_lo, s2
	global_atomic_cmpswap_b32 v8, v[6:7], v[8:9], off th:TH_ATOMIC_RETURN scope:SCOPE_DEV
	s_wait_loadcnt 0x0
	v_cmp_eq_u32_e64 s2, v9, v8
	v_mov_b32_e32 v9, v8
	s_or_b32 s16, s2, s16
	s_delay_alu instid0(SALU_CYCLE_1)
	s_and_not1_b32 exec_lo, exec_lo, s16
	s_cbranch_execz .LBB8_5
.LBB8_8:                                ;   Parent Loop BB8_3 Depth=1
                                        ;     Parent Loop BB8_6 Depth=2
                                        ; =>    This Inner Loop Header: Depth=3
	s_wait_loadcnt 0x0
	v_lshrrev_b32_e32 v8, 16, v9
	s_delay_alu instid0(VALU_DEP_1) | instskip(NEXT) | instid1(VALU_DEP_1)
	v_cndmask_b32_e64 v8, v8, v9, s0
	v_add_f16_e32 v8, v12, v8
	s_delay_alu instid0(VALU_DEP_1) | instskip(SKIP_1) | instid1(SALU_CYCLE_1)
	v_and_b32_e32 v13, 0xffff, v8
	s_and_saveexec_b32 s2, s1
	s_xor_b32 s2, exec_lo, s2
; %bb.9:                                ;   in Loop: Header=BB8_8 Depth=3
	v_and_b32_e32 v8, 0xffff, v9
	s_delay_alu instid0(VALU_DEP_1)
	v_lshl_or_b32 v8, v13, 16, v8
                                        ; implicit-def: $vgpr13
; %bb.10:                               ;   in Loop: Header=BB8_8 Depth=3
	s_and_not1_saveexec_b32 s2, s2
	s_cbranch_execz .LBB8_7
; %bb.11:                               ;   in Loop: Header=BB8_8 Depth=3
	v_and_or_b32 v8, 0xffff0000, v9, v13
	s_branch .LBB8_7
.LBB8_12:
	s_endpgm
	.section	.rodata,"a",@progbits
	.p2align	6, 0x0
	.amdhsa_kernel _ZN2at6native12_GLOBAL__N_126atomicadaptivemaxgradinputIN3c104HalfEEEvPT_PKS5_PKliiii
		.amdhsa_group_segment_fixed_size 0
		.amdhsa_private_segment_fixed_size 0
		.amdhsa_kernarg_size 296
		.amdhsa_user_sgpr_count 2
		.amdhsa_user_sgpr_dispatch_ptr 0
		.amdhsa_user_sgpr_queue_ptr 0
		.amdhsa_user_sgpr_kernarg_segment_ptr 1
		.amdhsa_user_sgpr_dispatch_id 0
		.amdhsa_user_sgpr_kernarg_preload_length 0
		.amdhsa_user_sgpr_kernarg_preload_offset 0
		.amdhsa_user_sgpr_private_segment_size 0
		.amdhsa_wavefront_size32 1
		.amdhsa_uses_dynamic_stack 0
		.amdhsa_enable_private_segment 0
		.amdhsa_system_sgpr_workgroup_id_x 1
		.amdhsa_system_sgpr_workgroup_id_y 1
		.amdhsa_system_sgpr_workgroup_id_z 0
		.amdhsa_system_sgpr_workgroup_info 0
		.amdhsa_system_vgpr_workitem_id 1
		.amdhsa_next_free_vgpr 18
		.amdhsa_next_free_sgpr 20
		.amdhsa_named_barrier_count 0
		.amdhsa_reserve_vcc 1
		.amdhsa_float_round_mode_32 0
		.amdhsa_float_round_mode_16_64 0
		.amdhsa_float_denorm_mode_32 3
		.amdhsa_float_denorm_mode_16_64 3
		.amdhsa_fp16_overflow 0
		.amdhsa_memory_ordered 1
		.amdhsa_forward_progress 1
		.amdhsa_inst_pref_size 6
		.amdhsa_round_robin_scheduling 0
		.amdhsa_exception_fp_ieee_invalid_op 0
		.amdhsa_exception_fp_denorm_src 0
		.amdhsa_exception_fp_ieee_div_zero 0
		.amdhsa_exception_fp_ieee_overflow 0
		.amdhsa_exception_fp_ieee_underflow 0
		.amdhsa_exception_fp_ieee_inexact 0
		.amdhsa_exception_int_div_zero 0
	.end_amdhsa_kernel
	.section	.text._ZN2at6native12_GLOBAL__N_126atomicadaptivemaxgradinputIN3c104HalfEEEvPT_PKS5_PKliiii,"axG",@progbits,_ZN2at6native12_GLOBAL__N_126atomicadaptivemaxgradinputIN3c104HalfEEEvPT_PKS5_PKliiii,comdat
.Lfunc_end8:
	.size	_ZN2at6native12_GLOBAL__N_126atomicadaptivemaxgradinputIN3c104HalfEEEvPT_PKS5_PKliiii, .Lfunc_end8-_ZN2at6native12_GLOBAL__N_126atomicadaptivemaxgradinputIN3c104HalfEEEvPT_PKS5_PKliiii
                                        ; -- End function
	.set _ZN2at6native12_GLOBAL__N_126atomicadaptivemaxgradinputIN3c104HalfEEEvPT_PKS5_PKliiii.num_vgpr, 18
	.set _ZN2at6native12_GLOBAL__N_126atomicadaptivemaxgradinputIN3c104HalfEEEvPT_PKS5_PKliiii.num_agpr, 0
	.set _ZN2at6native12_GLOBAL__N_126atomicadaptivemaxgradinputIN3c104HalfEEEvPT_PKS5_PKliiii.numbered_sgpr, 20
	.set _ZN2at6native12_GLOBAL__N_126atomicadaptivemaxgradinputIN3c104HalfEEEvPT_PKS5_PKliiii.num_named_barrier, 0
	.set _ZN2at6native12_GLOBAL__N_126atomicadaptivemaxgradinputIN3c104HalfEEEvPT_PKS5_PKliiii.private_seg_size, 0
	.set _ZN2at6native12_GLOBAL__N_126atomicadaptivemaxgradinputIN3c104HalfEEEvPT_PKS5_PKliiii.uses_vcc, 1
	.set _ZN2at6native12_GLOBAL__N_126atomicadaptivemaxgradinputIN3c104HalfEEEvPT_PKS5_PKliiii.uses_flat_scratch, 0
	.set _ZN2at6native12_GLOBAL__N_126atomicadaptivemaxgradinputIN3c104HalfEEEvPT_PKS5_PKliiii.has_dyn_sized_stack, 0
	.set _ZN2at6native12_GLOBAL__N_126atomicadaptivemaxgradinputIN3c104HalfEEEvPT_PKS5_PKliiii.has_recursion, 0
	.set _ZN2at6native12_GLOBAL__N_126atomicadaptivemaxgradinputIN3c104HalfEEEvPT_PKS5_PKliiii.has_indirect_call, 0
	.section	.AMDGPU.csdata,"",@progbits
; Kernel info:
; codeLenInByte = 644
; TotalNumSgprs: 22
; NumVgprs: 18
; ScratchSize: 0
; MemoryBound: 0
; FloatMode: 240
; IeeeMode: 1
; LDSByteSize: 0 bytes/workgroup (compile time only)
; SGPRBlocks: 0
; VGPRBlocks: 1
; NumSGPRsForWavesPerEU: 22
; NumVGPRsForWavesPerEU: 18
; NamedBarCnt: 0
; Occupancy: 16
; WaveLimiterHint : 1
; COMPUTE_PGM_RSRC2:SCRATCH_EN: 0
; COMPUTE_PGM_RSRC2:USER_SGPR: 2
; COMPUTE_PGM_RSRC2:TRAP_HANDLER: 0
; COMPUTE_PGM_RSRC2:TGID_X_EN: 1
; COMPUTE_PGM_RSRC2:TGID_Y_EN: 1
; COMPUTE_PGM_RSRC2:TGID_Z_EN: 0
; COMPUTE_PGM_RSRC2:TIDIG_COMP_CNT: 1
	.section	.text._ZN2at6native12_GLOBAL__N_120adaptivemaxgradinputIN3c104HalfEEEvPT_PKS5_PKliiii,"axG",@progbits,_ZN2at6native12_GLOBAL__N_120adaptivemaxgradinputIN3c104HalfEEEvPT_PKS5_PKliiii,comdat
	.globl	_ZN2at6native12_GLOBAL__N_120adaptivemaxgradinputIN3c104HalfEEEvPT_PKS5_PKliiii ; -- Begin function _ZN2at6native12_GLOBAL__N_120adaptivemaxgradinputIN3c104HalfEEEvPT_PKS5_PKliiii
	.p2align	8
	.type	_ZN2at6native12_GLOBAL__N_120adaptivemaxgradinputIN3c104HalfEEEvPT_PKS5_PKliiii,@function
_ZN2at6native12_GLOBAL__N_120adaptivemaxgradinputIN3c104HalfEEEvPT_PKS5_PKliiii: ; @_ZN2at6native12_GLOBAL__N_120adaptivemaxgradinputIN3c104HalfEEEvPT_PKS5_PKliiii
; %bb.0:
	s_clause 0x1
	s_load_b32 s12, s[0:1], 0x34
	s_load_b128 s[4:7], s[0:1], 0x18
	s_bfe_u32 s2, ttmp6, 0x40010
	s_bfe_u32 s3, ttmp6, 0x40004
	s_add_co_i32 s2, s2, 1
	s_getreg_b32 s13, hwreg(HW_REG_IB_STS2, 6, 4)
	s_mul_i32 s2, ttmp7, s2
	v_bfe_u32 v1, v0, 10, 10
	s_add_co_i32 s3, s3, s2
	s_mov_b32 s8, exec_lo
	s_wait_kmcnt 0x0
	s_lshr_b32 s2, s12, 16
	s_cmp_eq_u32 s13, 0
	s_cselect_b32 s3, ttmp7, s3
	s_delay_alu instid0(SALU_CYCLE_1) | instskip(SKIP_1) | instid1(VALU_DEP_1)
	v_mad_u32 v12, s3, s2, v1
	s_mov_b32 s3, 0
	v_cmpx_gt_i32_e64 s6, v12
	s_cbranch_execz .LBB9_6
; %bb.1:
	s_bfe_u32 s16, ttmp6, 0x4000c
	s_add_nc_u64 s[14:15], s[0:1], 40
	s_add_co_i32 s16, s16, 1
	s_load_b128 s[8:11], s[0:1], 0x0
	s_load_b32 s18, s[14:15], 0x4
	s_wait_xcnt 0x0
	s_and_b32 s14, ttmp6, 15
	s_mul_i32 s15, ttmp9, s16
	s_and_b32 s12, s12, 0xffff
	s_add_co_i32 s16, s14, s15
	s_load_b64 s[14:15], s[0:1], 0x10
	s_cmp_eq_u32 s13, 0
	v_and_b32_e32 v13, 0x3ff, v0
	s_wait_xcnt 0x0
	s_cselect_b32 s1, ttmp9, s16
	v_mov_b32_e32 v0, 0
	s_mul_i32 s0, s4, s1
	s_mul_i32 s4, s6, s1
	;; [unrolled: 1-line block ×4, first 2 shown]
	s_ashr_i32 s1, s0, 31
	s_ashr_i32 s17, s16, 31
	s_lshl_b64 s[0:1], s[0:1], 1
	v_dual_mov_b32 v5, v0 :: v_dual_lshlrev_b32 v4, 1, v13
	v_dual_mov_b32 v7, v0 :: v_dual_lshlrev_b32 v6, 3, v13
	s_wait_kmcnt 0x0
	s_add_nc_u64 s[4:5], s[8:9], s[0:1]
	s_lshl_b64 s[8:9], s[16:17], 1
	v_mul_lo_u32 v2, s7, v12
	s_lshl_b64 s[16:17], s[16:17], 3
	s_add_nc_u64 s[8:9], s[10:11], s[8:9]
	s_add_nc_u64 s[10:11], s[14:15], s[16:17]
	v_add_nc_u64_e32 v[4:5], s[8:9], v[4:5]
	v_add_nc_u64_e32 v[6:7], s[10:11], v[6:7]
	s_mul_i32 s1, s18, s2
	s_lshl_b32 s2, s12, 1
	s_mul_i32 s10, s1, s7
	s_lshl_b32 s8, s12, 3
	s_mov_b32 s9, s3
	s_mov_b32 s11, s3
	v_cmp_gt_i32_e32 vcc_lo, s7, v13
	s_branch .LBB9_3
.LBB9_2:                                ;   in Loop: Header=BB9_3 Depth=1
	s_or_b32 exec_lo, exec_lo, s13
	v_dual_add_nc_u32 v12, s1, v12 :: v_dual_add_nc_u32 v2, s10, v2
	s_delay_alu instid0(VALU_DEP_1) | instskip(SKIP_1) | instid1(SALU_CYCLE_1)
	v_cmp_le_i32_e64 s0, s6, v12
	s_or_b32 s11, s0, s11
	s_and_not1_b32 exec_lo, exec_lo, s11
	s_cbranch_execz .LBB9_6
.LBB9_3:                                ; =>This Loop Header: Depth=1
                                        ;     Child Loop BB9_5 Depth 2
	s_and_saveexec_b32 s13, vcc_lo
	s_cbranch_execz .LBB9_2
; %bb.4:                                ;   in Loop: Header=BB9_3 Depth=1
	v_ashrrev_i32_e32 v3, 31, v2
	s_mov_b32 s14, 0
	s_delay_alu instid0(VALU_DEP_1)
	v_lshl_add_u64 v[8:9], v[2:3], 1, v[4:5]
	v_lshl_add_u64 v[10:11], v[2:3], 3, v[6:7]
	v_mov_b32_e32 v3, v13
.LBB9_5:                                ;   Parent Loop BB9_3 Depth=1
                                        ; =>  This Inner Loop Header: Depth=2
	global_load_b32 v1, v[10:11], off
	v_add_nc_u32_e32 v3, s12, v3
	s_wait_xcnt 0x0
	v_add_nc_u64_e32 v[10:11], s[8:9], v[10:11]
	s_delay_alu instid0(VALU_DEP_2) | instskip(SKIP_3) | instid1(VALU_DEP_1)
	v_cmp_le_i32_e64 s0, s7, v3
	s_or_b32 s14, s0, s14
	s_wait_loadcnt 0x0
	v_ashrrev_i64 v[14:15], 31, v[0:1]
	v_add_nc_u64_e32 v[14:15], s[4:5], v[14:15]
	global_load_u16 v1, v[8:9], off
	global_load_u16 v16, v[14:15], off
	s_wait_xcnt 0x1
	v_add_nc_u64_e32 v[8:9], s[2:3], v[8:9]
	s_wait_loadcnt 0x0
	v_add_f16_e32 v1, v1, v16
	global_store_b16 v[14:15], v1, off
	s_wait_xcnt 0x0
	s_and_not1_b32 exec_lo, exec_lo, s14
	s_cbranch_execnz .LBB9_5
	s_branch .LBB9_2
.LBB9_6:
	s_endpgm
	.section	.rodata,"a",@progbits
	.p2align	6, 0x0
	.amdhsa_kernel _ZN2at6native12_GLOBAL__N_120adaptivemaxgradinputIN3c104HalfEEEvPT_PKS5_PKliiii
		.amdhsa_group_segment_fixed_size 0
		.amdhsa_private_segment_fixed_size 0
		.amdhsa_kernarg_size 296
		.amdhsa_user_sgpr_count 2
		.amdhsa_user_sgpr_dispatch_ptr 0
		.amdhsa_user_sgpr_queue_ptr 0
		.amdhsa_user_sgpr_kernarg_segment_ptr 1
		.amdhsa_user_sgpr_dispatch_id 0
		.amdhsa_user_sgpr_kernarg_preload_length 0
		.amdhsa_user_sgpr_kernarg_preload_offset 0
		.amdhsa_user_sgpr_private_segment_size 0
		.amdhsa_wavefront_size32 1
		.amdhsa_uses_dynamic_stack 0
		.amdhsa_enable_private_segment 0
		.amdhsa_system_sgpr_workgroup_id_x 1
		.amdhsa_system_sgpr_workgroup_id_y 1
		.amdhsa_system_sgpr_workgroup_id_z 0
		.amdhsa_system_sgpr_workgroup_info 0
		.amdhsa_system_vgpr_workitem_id 1
		.amdhsa_next_free_vgpr 17
		.amdhsa_next_free_sgpr 19
		.amdhsa_named_barrier_count 0
		.amdhsa_reserve_vcc 1
		.amdhsa_float_round_mode_32 0
		.amdhsa_float_round_mode_16_64 0
		.amdhsa_float_denorm_mode_32 3
		.amdhsa_float_denorm_mode_16_64 3
		.amdhsa_fp16_overflow 0
		.amdhsa_memory_ordered 1
		.amdhsa_forward_progress 1
		.amdhsa_inst_pref_size 5
		.amdhsa_round_robin_scheduling 0
		.amdhsa_exception_fp_ieee_invalid_op 0
		.amdhsa_exception_fp_denorm_src 0
		.amdhsa_exception_fp_ieee_div_zero 0
		.amdhsa_exception_fp_ieee_overflow 0
		.amdhsa_exception_fp_ieee_underflow 0
		.amdhsa_exception_fp_ieee_inexact 0
		.amdhsa_exception_int_div_zero 0
	.end_amdhsa_kernel
	.section	.text._ZN2at6native12_GLOBAL__N_120adaptivemaxgradinputIN3c104HalfEEEvPT_PKS5_PKliiii,"axG",@progbits,_ZN2at6native12_GLOBAL__N_120adaptivemaxgradinputIN3c104HalfEEEvPT_PKS5_PKliiii,comdat
.Lfunc_end9:
	.size	_ZN2at6native12_GLOBAL__N_120adaptivemaxgradinputIN3c104HalfEEEvPT_PKS5_PKliiii, .Lfunc_end9-_ZN2at6native12_GLOBAL__N_120adaptivemaxgradinputIN3c104HalfEEEvPT_PKS5_PKliiii
                                        ; -- End function
	.set _ZN2at6native12_GLOBAL__N_120adaptivemaxgradinputIN3c104HalfEEEvPT_PKS5_PKliiii.num_vgpr, 17
	.set _ZN2at6native12_GLOBAL__N_120adaptivemaxgradinputIN3c104HalfEEEvPT_PKS5_PKliiii.num_agpr, 0
	.set _ZN2at6native12_GLOBAL__N_120adaptivemaxgradinputIN3c104HalfEEEvPT_PKS5_PKliiii.numbered_sgpr, 19
	.set _ZN2at6native12_GLOBAL__N_120adaptivemaxgradinputIN3c104HalfEEEvPT_PKS5_PKliiii.num_named_barrier, 0
	.set _ZN2at6native12_GLOBAL__N_120adaptivemaxgradinputIN3c104HalfEEEvPT_PKS5_PKliiii.private_seg_size, 0
	.set _ZN2at6native12_GLOBAL__N_120adaptivemaxgradinputIN3c104HalfEEEvPT_PKS5_PKliiii.uses_vcc, 1
	.set _ZN2at6native12_GLOBAL__N_120adaptivemaxgradinputIN3c104HalfEEEvPT_PKS5_PKliiii.uses_flat_scratch, 0
	.set _ZN2at6native12_GLOBAL__N_120adaptivemaxgradinputIN3c104HalfEEEvPT_PKS5_PKliiii.has_dyn_sized_stack, 0
	.set _ZN2at6native12_GLOBAL__N_120adaptivemaxgradinputIN3c104HalfEEEvPT_PKS5_PKliiii.has_recursion, 0
	.set _ZN2at6native12_GLOBAL__N_120adaptivemaxgradinputIN3c104HalfEEEvPT_PKS5_PKliiii.has_indirect_call, 0
	.section	.AMDGPU.csdata,"",@progbits
; Kernel info:
; codeLenInByte = 520
; TotalNumSgprs: 21
; NumVgprs: 17
; ScratchSize: 0
; MemoryBound: 0
; FloatMode: 240
; IeeeMode: 1
; LDSByteSize: 0 bytes/workgroup (compile time only)
; SGPRBlocks: 0
; VGPRBlocks: 1
; NumSGPRsForWavesPerEU: 21
; NumVGPRsForWavesPerEU: 17
; NamedBarCnt: 0
; Occupancy: 16
; WaveLimiterHint : 1
; COMPUTE_PGM_RSRC2:SCRATCH_EN: 0
; COMPUTE_PGM_RSRC2:USER_SGPR: 2
; COMPUTE_PGM_RSRC2:TRAP_HANDLER: 0
; COMPUTE_PGM_RSRC2:TGID_X_EN: 1
; COMPUTE_PGM_RSRC2:TGID_Y_EN: 1
; COMPUTE_PGM_RSRC2:TGID_Z_EN: 0
; COMPUTE_PGM_RSRC2:TIDIG_COMP_CNT: 1
	.section	.text._ZN2at6native12_GLOBAL__N_126atomicadaptivemaxgradinputIN3c108BFloat16EEEvPT_PKS5_PKliiii,"axG",@progbits,_ZN2at6native12_GLOBAL__N_126atomicadaptivemaxgradinputIN3c108BFloat16EEEvPT_PKS5_PKliiii,comdat
	.globl	_ZN2at6native12_GLOBAL__N_126atomicadaptivemaxgradinputIN3c108BFloat16EEEvPT_PKS5_PKliiii ; -- Begin function _ZN2at6native12_GLOBAL__N_126atomicadaptivemaxgradinputIN3c108BFloat16EEEvPT_PKS5_PKliiii
	.p2align	8
	.type	_ZN2at6native12_GLOBAL__N_126atomicadaptivemaxgradinputIN3c108BFloat16EEEvPT_PKS5_PKliiii,@function
_ZN2at6native12_GLOBAL__N_126atomicadaptivemaxgradinputIN3c108BFloat16EEEvPT_PKS5_PKliiii: ; @_ZN2at6native12_GLOBAL__N_126atomicadaptivemaxgradinputIN3c108BFloat16EEEvPT_PKS5_PKliiii
; %bb.0:
	s_clause 0x1
	s_load_b32 s2, s[0:1], 0x34
	s_load_b128 s[4:7], s[0:1], 0x18
	s_bfe_u32 s3, ttmp6, 0x40010
	s_bfe_u32 s8, ttmp6, 0x40004
	s_add_co_i32 s3, s3, 1
	v_bfe_u32 v1, v0, 10, 10
	s_mul_i32 s9, ttmp7, s3
	s_getreg_b32 s3, hwreg(HW_REG_IB_STS2, 6, 4)
	s_add_co_i32 s9, s8, s9
	s_mov_b32 s10, 0
	s_wait_kmcnt 0x0
	s_lshr_b32 s8, s2, 16
	s_cmp_eq_u32 s3, 0
	s_cselect_b32 s9, ttmp7, s9
	s_delay_alu instid0(SALU_CYCLE_1) | instskip(SKIP_1) | instid1(VALU_DEP_1)
	v_mad_u32 v10, s9, s8, v1
	s_mov_b32 s9, exec_lo
	v_cmpx_gt_i32_e64 s6, v10
	s_cbranch_execz .LBB10_8
; %bb.1:
	s_add_nc_u64 s[12:13], s[0:1], 40
	s_load_b128 s[16:19], s[0:1], 0x0
	s_load_b32 s9, s[12:13], 0x4
	s_bfe_u32 s11, ttmp6, 0x4000c
	s_wait_xcnt 0x0
	s_load_b64 s[0:1], s[0:1], 0x10
	s_add_co_i32 s11, s11, 1
	s_and_b32 s12, ttmp6, 15
	s_mul_i32 s13, ttmp9, s11
	s_and_b32 s11, s2, 0xffff
	s_add_co_i32 s12, s12, s13
	s_cmp_eq_u32 s3, 0
	v_and_b32_e32 v11, 0x3ff, v0
	s_cselect_b32 s2, ttmp9, s12
	v_mov_b32_e32 v1, 0
	s_mul_i32 s3, s6, s2
	s_mul_i32 s2, s4, s2
	;; [unrolled: 1-line block ×4, first 2 shown]
	s_ashr_i32 s5, s4, 31
	s_ashr_i32 s3, s2, 31
	s_lshl_b64 s[12:13], s[4:5], 1
	s_lshl_b64 s[14:15], s[2:3], 1
	s_wait_kmcnt 0x0
	s_add_nc_u64 s[2:3], s[18:19], s[12:13]
	s_mul_i32 s12, s9, s8
	s_lshl_b64 s[8:9], s[4:5], 3
	s_add_nc_u64 s[4:5], s[16:17], s[14:15]
	s_add_nc_u64 s[8:9], s[0:1], s[8:9]
	v_cmp_gt_i32_e32 vcc_lo, s7, v11
	s_branch .LBB10_3
.LBB10_2:                               ;   in Loop: Header=BB10_3 Depth=1
	s_or_b32 exec_lo, exec_lo, s13
	v_add_nc_u32_e32 v10, s12, v10
	s_delay_alu instid0(VALU_DEP_1) | instskip(SKIP_1) | instid1(SALU_CYCLE_1)
	v_cmp_le_i32_e64 s0, s6, v10
	s_or_b32 s10, s0, s10
	s_and_not1_b32 exec_lo, exec_lo, s10
	s_cbranch_execz .LBB10_8
.LBB10_3:                               ; =>This Loop Header: Depth=1
                                        ;     Child Loop BB10_5 Depth 2
                                        ;       Child Loop BB10_6 Depth 3
	s_and_saveexec_b32 s13, vcc_lo
	s_cbranch_execz .LBB10_2
; %bb.4:                                ;   in Loop: Header=BB10_3 Depth=1
	v_mul_lo_u32 v4, v10, s7
	s_mov_b32 s14, 0
	s_delay_alu instid0(VALU_DEP_1) | instskip(NEXT) | instid1(VALU_DEP_1)
	v_dual_mov_b32 v0, v11 :: v_dual_ashrrev_i32 v5, 31, v4
	v_lshl_add_u64 v[2:3], v[4:5], 1, s[2:3]
	v_lshl_add_u64 v[4:5], v[4:5], 3, s[8:9]
.LBB10_5:                               ;   Parent Loop BB10_3 Depth=1
                                        ; =>  This Loop Header: Depth=2
                                        ;       Child Loop BB10_6 Depth 3
	s_delay_alu instid0(VALU_DEP_1) | instskip(NEXT) | instid1(VALU_DEP_3)
	v_lshl_add_u64 v[6:7], v[0:1], 3, v[4:5]
	v_lshl_add_u64 v[14:15], v[0:1], 1, v[2:3]
	s_mov_b32 s15, 0
	v_mov_b32_e32 v13, v1
	global_load_b32 v7, v[6:7], off
	s_wait_xcnt 0x0
	v_mov_b32_e32 v6, v1
	s_wait_loadcnt 0x0
	s_delay_alu instid0(VALU_DEP_1) | instskip(NEXT) | instid1(VALU_DEP_1)
	v_ashrrev_i64 v[6:7], 31, v[6:7]
	v_add_nc_u64_e32 v[6:7], s[4:5], v[6:7]
	s_delay_alu instid0(VALU_DEP_1) | instskip(NEXT) | instid1(VALU_DEP_1)
	v_and_b32_e32 v12, 2, v6
	v_sub_nc_u64_e32 v[8:9], 0, v[12:13]
	v_cmp_eq_u64_e64 s0, 0, v[12:13]
	s_delay_alu instid0(VALU_DEP_2)
	v_add_nc_u64_e32 v[6:7], v[6:7], v[8:9]
	global_load_u16 v8, v[14:15], off
	global_load_b32 v9, v[6:7], off
	s_wait_loadcnt 0x1
	v_lshlrev_b32_e32 v12, 16, v8
.LBB10_6:                               ;   Parent Loop BB10_3 Depth=1
                                        ;     Parent Loop BB10_5 Depth=2
                                        ; =>    This Inner Loop Header: Depth=3
	s_wait_loadcnt 0x0
	v_lshrrev_b32_e32 v8, 16, v9
	v_and_b32_e32 v13, 0xffff, v9
	s_delay_alu instid0(VALU_DEP_1) | instskip(NEXT) | instid1(VALU_DEP_1)
	v_cndmask_b32_e64 v8, v8, v13, s0
	v_lshlrev_b32_e32 v8, 16, v8
	s_delay_alu instid0(VALU_DEP_1) | instskip(NEXT) | instid1(VALU_DEP_1)
	v_add_f32_e32 v8, v12, v8
	v_bfe_u32 v14, v8, 16, 1
	v_cmp_o_f32_e64 s1, v8, v8
	s_delay_alu instid0(VALU_DEP_2) | instskip(NEXT) | instid1(VALU_DEP_1)
	v_add3_u32 v14, v8, v14, 0x7fff
	v_lshrrev_b32_e32 v14, 16, v14
	s_delay_alu instid0(VALU_DEP_1) | instskip(NEXT) | instid1(VALU_DEP_1)
	v_cndmask_b32_e64 v8, 0x7fc0, v14, s1
	v_lshl_or_b32 v13, v8, 16, v13
	v_and_or_b32 v8, 0xffff0000, v9, v8
	s_delay_alu instid0(VALU_DEP_1)
	v_cndmask_b32_e64 v8, v13, v8, s0
	global_atomic_cmpswap_b32 v8, v[6:7], v[8:9], off th:TH_ATOMIC_RETURN scope:SCOPE_DEV
	s_wait_loadcnt 0x0
	v_cmp_eq_u32_e64 s1, v9, v8
	v_mov_b32_e32 v9, v8
	s_or_b32 s15, s1, s15
	s_delay_alu instid0(SALU_CYCLE_1)
	s_and_not1_b32 exec_lo, exec_lo, s15
	s_cbranch_execnz .LBB10_6
; %bb.7:                                ;   in Loop: Header=BB10_5 Depth=2
	s_or_b32 exec_lo, exec_lo, s15
	v_add_nc_u32_e32 v0, s11, v0
	s_delay_alu instid0(VALU_DEP_1) | instskip(SKIP_1) | instid1(SALU_CYCLE_1)
	v_cmp_le_i32_e64 s0, s7, v0
	s_or_b32 s14, s0, s14
	s_and_not1_b32 exec_lo, exec_lo, s14
	s_cbranch_execnz .LBB10_5
	s_branch .LBB10_2
.LBB10_8:
	s_endpgm
	.section	.rodata,"a",@progbits
	.p2align	6, 0x0
	.amdhsa_kernel _ZN2at6native12_GLOBAL__N_126atomicadaptivemaxgradinputIN3c108BFloat16EEEvPT_PKS5_PKliiii
		.amdhsa_group_segment_fixed_size 0
		.amdhsa_private_segment_fixed_size 0
		.amdhsa_kernarg_size 296
		.amdhsa_user_sgpr_count 2
		.amdhsa_user_sgpr_dispatch_ptr 0
		.amdhsa_user_sgpr_queue_ptr 0
		.amdhsa_user_sgpr_kernarg_segment_ptr 1
		.amdhsa_user_sgpr_dispatch_id 0
		.amdhsa_user_sgpr_kernarg_preload_length 0
		.amdhsa_user_sgpr_kernarg_preload_offset 0
		.amdhsa_user_sgpr_private_segment_size 0
		.amdhsa_wavefront_size32 1
		.amdhsa_uses_dynamic_stack 0
		.amdhsa_enable_private_segment 0
		.amdhsa_system_sgpr_workgroup_id_x 1
		.amdhsa_system_sgpr_workgroup_id_y 1
		.amdhsa_system_sgpr_workgroup_id_z 0
		.amdhsa_system_sgpr_workgroup_info 0
		.amdhsa_system_vgpr_workitem_id 1
		.amdhsa_next_free_vgpr 16
		.amdhsa_next_free_sgpr 20
		.amdhsa_named_barrier_count 0
		.amdhsa_reserve_vcc 1
		.amdhsa_float_round_mode_32 0
		.amdhsa_float_round_mode_16_64 0
		.amdhsa_float_denorm_mode_32 3
		.amdhsa_float_denorm_mode_16_64 3
		.amdhsa_fp16_overflow 0
		.amdhsa_memory_ordered 1
		.amdhsa_forward_progress 1
		.amdhsa_inst_pref_size 6
		.amdhsa_round_robin_scheduling 0
		.amdhsa_exception_fp_ieee_invalid_op 0
		.amdhsa_exception_fp_denorm_src 0
		.amdhsa_exception_fp_ieee_div_zero 0
		.amdhsa_exception_fp_ieee_overflow 0
		.amdhsa_exception_fp_ieee_underflow 0
		.amdhsa_exception_fp_ieee_inexact 0
		.amdhsa_exception_int_div_zero 0
	.end_amdhsa_kernel
	.section	.text._ZN2at6native12_GLOBAL__N_126atomicadaptivemaxgradinputIN3c108BFloat16EEEvPT_PKS5_PKliiii,"axG",@progbits,_ZN2at6native12_GLOBAL__N_126atomicadaptivemaxgradinputIN3c108BFloat16EEEvPT_PKS5_PKliiii,comdat
.Lfunc_end10:
	.size	_ZN2at6native12_GLOBAL__N_126atomicadaptivemaxgradinputIN3c108BFloat16EEEvPT_PKS5_PKliiii, .Lfunc_end10-_ZN2at6native12_GLOBAL__N_126atomicadaptivemaxgradinputIN3c108BFloat16EEEvPT_PKS5_PKliiii
                                        ; -- End function
	.set _ZN2at6native12_GLOBAL__N_126atomicadaptivemaxgradinputIN3c108BFloat16EEEvPT_PKS5_PKliiii.num_vgpr, 16
	.set _ZN2at6native12_GLOBAL__N_126atomicadaptivemaxgradinputIN3c108BFloat16EEEvPT_PKS5_PKliiii.num_agpr, 0
	.set _ZN2at6native12_GLOBAL__N_126atomicadaptivemaxgradinputIN3c108BFloat16EEEvPT_PKS5_PKliiii.numbered_sgpr, 20
	.set _ZN2at6native12_GLOBAL__N_126atomicadaptivemaxgradinputIN3c108BFloat16EEEvPT_PKS5_PKliiii.num_named_barrier, 0
	.set _ZN2at6native12_GLOBAL__N_126atomicadaptivemaxgradinputIN3c108BFloat16EEEvPT_PKS5_PKliiii.private_seg_size, 0
	.set _ZN2at6native12_GLOBAL__N_126atomicadaptivemaxgradinputIN3c108BFloat16EEEvPT_PKS5_PKliiii.uses_vcc, 1
	.set _ZN2at6native12_GLOBAL__N_126atomicadaptivemaxgradinputIN3c108BFloat16EEEvPT_PKS5_PKliiii.uses_flat_scratch, 0
	.set _ZN2at6native12_GLOBAL__N_126atomicadaptivemaxgradinputIN3c108BFloat16EEEvPT_PKS5_PKliiii.has_dyn_sized_stack, 0
	.set _ZN2at6native12_GLOBAL__N_126atomicadaptivemaxgradinputIN3c108BFloat16EEEvPT_PKS5_PKliiii.has_recursion, 0
	.set _ZN2at6native12_GLOBAL__N_126atomicadaptivemaxgradinputIN3c108BFloat16EEEvPT_PKS5_PKliiii.has_indirect_call, 0
	.section	.AMDGPU.csdata,"",@progbits
; Kernel info:
; codeLenInByte = 672
; TotalNumSgprs: 22
; NumVgprs: 16
; ScratchSize: 0
; MemoryBound: 0
; FloatMode: 240
; IeeeMode: 1
; LDSByteSize: 0 bytes/workgroup (compile time only)
; SGPRBlocks: 0
; VGPRBlocks: 0
; NumSGPRsForWavesPerEU: 22
; NumVGPRsForWavesPerEU: 16
; NamedBarCnt: 0
; Occupancy: 16
; WaveLimiterHint : 1
; COMPUTE_PGM_RSRC2:SCRATCH_EN: 0
; COMPUTE_PGM_RSRC2:USER_SGPR: 2
; COMPUTE_PGM_RSRC2:TRAP_HANDLER: 0
; COMPUTE_PGM_RSRC2:TGID_X_EN: 1
; COMPUTE_PGM_RSRC2:TGID_Y_EN: 1
; COMPUTE_PGM_RSRC2:TGID_Z_EN: 0
; COMPUTE_PGM_RSRC2:TIDIG_COMP_CNT: 1
	.section	.text._ZN2at6native12_GLOBAL__N_120adaptivemaxgradinputIN3c108BFloat16EEEvPT_PKS5_PKliiii,"axG",@progbits,_ZN2at6native12_GLOBAL__N_120adaptivemaxgradinputIN3c108BFloat16EEEvPT_PKS5_PKliiii,comdat
	.globl	_ZN2at6native12_GLOBAL__N_120adaptivemaxgradinputIN3c108BFloat16EEEvPT_PKS5_PKliiii ; -- Begin function _ZN2at6native12_GLOBAL__N_120adaptivemaxgradinputIN3c108BFloat16EEEvPT_PKS5_PKliiii
	.p2align	8
	.type	_ZN2at6native12_GLOBAL__N_120adaptivemaxgradinputIN3c108BFloat16EEEvPT_PKS5_PKliiii,@function
_ZN2at6native12_GLOBAL__N_120adaptivemaxgradinputIN3c108BFloat16EEEvPT_PKS5_PKliiii: ; @_ZN2at6native12_GLOBAL__N_120adaptivemaxgradinputIN3c108BFloat16EEEvPT_PKS5_PKliiii
; %bb.0:
	s_clause 0x1
	s_load_b32 s12, s[0:1], 0x34
	s_load_b128 s[4:7], s[0:1], 0x18
	s_bfe_u32 s2, ttmp6, 0x40010
	s_bfe_u32 s3, ttmp6, 0x40004
	s_add_co_i32 s2, s2, 1
	s_getreg_b32 s13, hwreg(HW_REG_IB_STS2, 6, 4)
	s_mul_i32 s2, ttmp7, s2
	v_bfe_u32 v1, v0, 10, 10
	s_add_co_i32 s3, s3, s2
	s_mov_b32 s8, exec_lo
	s_wait_kmcnt 0x0
	s_lshr_b32 s2, s12, 16
	s_cmp_eq_u32 s13, 0
	s_cselect_b32 s3, ttmp7, s3
	s_delay_alu instid0(SALU_CYCLE_1) | instskip(SKIP_1) | instid1(VALU_DEP_1)
	v_mad_u32 v12, s3, s2, v1
	s_mov_b32 s3, 0
	v_cmpx_gt_i32_e64 s6, v12
	s_cbranch_execz .LBB11_6
; %bb.1:
	s_load_b128 s[8:11], s[0:1], 0x0
	s_bfe_u32 s16, ttmp6, 0x4000c
	s_add_nc_u64 s[14:15], s[0:1], 40
	s_wait_xcnt 0x0
	s_load_b64 s[0:1], s[0:1], 0x10
	s_add_co_i32 s16, s16, 1
	s_load_b32 s17, s[14:15], 0x4
	s_wait_xcnt 0x0
	s_and_b32 s14, ttmp6, 15
	s_mul_i32 s15, ttmp9, s16
	s_and_b32 s12, s12, 0xffff
	s_add_co_i32 s14, s14, s15
	s_cmp_eq_u32 s13, 0
	v_and_b32_e32 v13, 0x3ff, v0
	s_cselect_b32 s13, ttmp9, s14
	v_mov_b32_e32 v0, 0
	s_mul_i32 s4, s4, s13
	s_mul_i32 s13, s6, s13
	;; [unrolled: 1-line block ×4, first 2 shown]
	s_ashr_i32 s5, s4, 31
	s_ashr_i32 s15, s14, 31
	s_lshl_b64 s[4:5], s[4:5], 1
	v_dual_mov_b32 v5, v0 :: v_dual_lshlrev_b32 v4, 1, v13
	v_dual_mov_b32 v7, v0 :: v_dual_lshlrev_b32 v6, 3, v13
	s_wait_kmcnt 0x0
	s_add_nc_u64 s[4:5], s[8:9], s[4:5]
	s_lshl_b64 s[8:9], s[14:15], 1
	v_mul_lo_u32 v2, s7, v12
	s_lshl_b64 s[14:15], s[14:15], 3
	s_add_nc_u64 s[8:9], s[10:11], s[8:9]
	s_add_nc_u64 s[0:1], s[0:1], s[14:15]
	v_add_nc_u64_e32 v[4:5], s[8:9], v[4:5]
	v_add_nc_u64_e32 v[6:7], s[0:1], v[6:7]
	s_mul_i32 s13, s17, s2
	s_lshl_b32 s2, s12, 1
	s_mul_i32 s10, s13, s7
	s_lshl_b32 s8, s12, 3
	s_mov_b32 s9, s3
	s_mov_b32 s11, s3
	v_cmp_gt_i32_e32 vcc_lo, s7, v13
	s_branch .LBB11_3
.LBB11_2:                               ;   in Loop: Header=BB11_3 Depth=1
	s_or_b32 exec_lo, exec_lo, s14
	v_dual_add_nc_u32 v12, s13, v12 :: v_dual_add_nc_u32 v2, s10, v2
	s_delay_alu instid0(VALU_DEP_1) | instskip(SKIP_1) | instid1(SALU_CYCLE_1)
	v_cmp_le_i32_e64 s0, s6, v12
	s_or_b32 s11, s0, s11
	s_and_not1_b32 exec_lo, exec_lo, s11
	s_cbranch_execz .LBB11_6
.LBB11_3:                               ; =>This Loop Header: Depth=1
                                        ;     Child Loop BB11_5 Depth 2
	s_and_saveexec_b32 s14, vcc_lo
	s_cbranch_execz .LBB11_2
; %bb.4:                                ;   in Loop: Header=BB11_3 Depth=1
	v_ashrrev_i32_e32 v3, 31, v2
	s_mov_b32 s15, 0
	s_delay_alu instid0(VALU_DEP_1)
	v_lshl_add_u64 v[8:9], v[2:3], 1, v[4:5]
	v_lshl_add_u64 v[10:11], v[2:3], 3, v[6:7]
	v_mov_b32_e32 v3, v13
.LBB11_5:                               ;   Parent Loop BB11_3 Depth=1
                                        ; =>  This Inner Loop Header: Depth=2
	global_load_b32 v1, v[10:11], off
	s_wait_xcnt 0x0
	v_add_nc_u64_e32 v[10:11], s[8:9], v[10:11]
	v_add_nc_u32_e32 v3, s12, v3
	s_delay_alu instid0(VALU_DEP_1) | instskip(SKIP_3) | instid1(VALU_DEP_1)
	v_cmp_le_i32_e64 s0, s7, v3
	s_or_b32 s15, s0, s15
	s_wait_loadcnt 0x0
	v_ashrrev_i64 v[14:15], 31, v[0:1]
	v_add_nc_u64_e32 v[14:15], s[4:5], v[14:15]
	global_load_u16 v1, v[8:9], off
	global_load_u16 v16, v[14:15], off
	s_wait_xcnt 0x1
	v_add_nc_u64_e32 v[8:9], s[2:3], v[8:9]
	s_wait_loadcnt 0x0
	v_dual_lshlrev_b32 v1, 16, v1 :: v_dual_lshlrev_b32 v16, 16, v16
	s_delay_alu instid0(VALU_DEP_1) | instskip(NEXT) | instid1(VALU_DEP_1)
	v_add_f32_e32 v1, v16, v1
	v_bfe_u32 v16, v1, 16, 1
	v_cmp_o_f32_e64 s1, v1, v1
	s_delay_alu instid0(VALU_DEP_2) | instskip(NEXT) | instid1(VALU_DEP_1)
	v_add3_u32 v16, v1, v16, 0x7fff
	v_lshrrev_b32_e32 v16, 16, v16
	s_delay_alu instid0(VALU_DEP_1)
	v_cndmask_b32_e64 v1, 0x7fc0, v16, s1
	global_store_b16 v[14:15], v1, off
	s_wait_xcnt 0x0
	s_and_not1_b32 exec_lo, exec_lo, s15
	s_cbranch_execnz .LBB11_5
	s_branch .LBB11_2
.LBB11_6:
	s_endpgm
	.section	.rodata,"a",@progbits
	.p2align	6, 0x0
	.amdhsa_kernel _ZN2at6native12_GLOBAL__N_120adaptivemaxgradinputIN3c108BFloat16EEEvPT_PKS5_PKliiii
		.amdhsa_group_segment_fixed_size 0
		.amdhsa_private_segment_fixed_size 0
		.amdhsa_kernarg_size 296
		.amdhsa_user_sgpr_count 2
		.amdhsa_user_sgpr_dispatch_ptr 0
		.amdhsa_user_sgpr_queue_ptr 0
		.amdhsa_user_sgpr_kernarg_segment_ptr 1
		.amdhsa_user_sgpr_dispatch_id 0
		.amdhsa_user_sgpr_kernarg_preload_length 0
		.amdhsa_user_sgpr_kernarg_preload_offset 0
		.amdhsa_user_sgpr_private_segment_size 0
		.amdhsa_wavefront_size32 1
		.amdhsa_uses_dynamic_stack 0
		.amdhsa_enable_private_segment 0
		.amdhsa_system_sgpr_workgroup_id_x 1
		.amdhsa_system_sgpr_workgroup_id_y 1
		.amdhsa_system_sgpr_workgroup_id_z 0
		.amdhsa_system_sgpr_workgroup_info 0
		.amdhsa_system_vgpr_workitem_id 1
		.amdhsa_next_free_vgpr 17
		.amdhsa_next_free_sgpr 18
		.amdhsa_named_barrier_count 0
		.amdhsa_reserve_vcc 1
		.amdhsa_float_round_mode_32 0
		.amdhsa_float_round_mode_16_64 0
		.amdhsa_float_denorm_mode_32 3
		.amdhsa_float_denorm_mode_16_64 3
		.amdhsa_fp16_overflow 0
		.amdhsa_memory_ordered 1
		.amdhsa_forward_progress 1
		.amdhsa_inst_pref_size 5
		.amdhsa_round_robin_scheduling 0
		.amdhsa_exception_fp_ieee_invalid_op 0
		.amdhsa_exception_fp_denorm_src 0
		.amdhsa_exception_fp_ieee_div_zero 0
		.amdhsa_exception_fp_ieee_overflow 0
		.amdhsa_exception_fp_ieee_underflow 0
		.amdhsa_exception_fp_ieee_inexact 0
		.amdhsa_exception_int_div_zero 0
	.end_amdhsa_kernel
	.section	.text._ZN2at6native12_GLOBAL__N_120adaptivemaxgradinputIN3c108BFloat16EEEvPT_PKS5_PKliiii,"axG",@progbits,_ZN2at6native12_GLOBAL__N_120adaptivemaxgradinputIN3c108BFloat16EEEvPT_PKS5_PKliiii,comdat
.Lfunc_end11:
	.size	_ZN2at6native12_GLOBAL__N_120adaptivemaxgradinputIN3c108BFloat16EEEvPT_PKS5_PKliiii, .Lfunc_end11-_ZN2at6native12_GLOBAL__N_120adaptivemaxgradinputIN3c108BFloat16EEEvPT_PKS5_PKliiii
                                        ; -- End function
	.set _ZN2at6native12_GLOBAL__N_120adaptivemaxgradinputIN3c108BFloat16EEEvPT_PKS5_PKliiii.num_vgpr, 17
	.set _ZN2at6native12_GLOBAL__N_120adaptivemaxgradinputIN3c108BFloat16EEEvPT_PKS5_PKliiii.num_agpr, 0
	.set _ZN2at6native12_GLOBAL__N_120adaptivemaxgradinputIN3c108BFloat16EEEvPT_PKS5_PKliiii.numbered_sgpr, 18
	.set _ZN2at6native12_GLOBAL__N_120adaptivemaxgradinputIN3c108BFloat16EEEvPT_PKS5_PKliiii.num_named_barrier, 0
	.set _ZN2at6native12_GLOBAL__N_120adaptivemaxgradinputIN3c108BFloat16EEEvPT_PKS5_PKliiii.private_seg_size, 0
	.set _ZN2at6native12_GLOBAL__N_120adaptivemaxgradinputIN3c108BFloat16EEEvPT_PKS5_PKliiii.uses_vcc, 1
	.set _ZN2at6native12_GLOBAL__N_120adaptivemaxgradinputIN3c108BFloat16EEEvPT_PKS5_PKliiii.uses_flat_scratch, 0
	.set _ZN2at6native12_GLOBAL__N_120adaptivemaxgradinputIN3c108BFloat16EEEvPT_PKS5_PKliiii.has_dyn_sized_stack, 0
	.set _ZN2at6native12_GLOBAL__N_120adaptivemaxgradinputIN3c108BFloat16EEEvPT_PKS5_PKliiii.has_recursion, 0
	.set _ZN2at6native12_GLOBAL__N_120adaptivemaxgradinputIN3c108BFloat16EEEvPT_PKS5_PKliiii.has_indirect_call, 0
	.section	.AMDGPU.csdata,"",@progbits
; Kernel info:
; codeLenInByte = 588
; TotalNumSgprs: 20
; NumVgprs: 17
; ScratchSize: 0
; MemoryBound: 0
; FloatMode: 240
; IeeeMode: 1
; LDSByteSize: 0 bytes/workgroup (compile time only)
; SGPRBlocks: 0
; VGPRBlocks: 1
; NumSGPRsForWavesPerEU: 20
; NumVGPRsForWavesPerEU: 17
; NamedBarCnt: 0
; Occupancy: 16
; WaveLimiterHint : 1
; COMPUTE_PGM_RSRC2:SCRATCH_EN: 0
; COMPUTE_PGM_RSRC2:USER_SGPR: 2
; COMPUTE_PGM_RSRC2:TRAP_HANDLER: 0
; COMPUTE_PGM_RSRC2:TGID_X_EN: 1
; COMPUTE_PGM_RSRC2:TGID_Y_EN: 1
; COMPUTE_PGM_RSRC2:TGID_Z_EN: 0
; COMPUTE_PGM_RSRC2:TIDIG_COMP_CNT: 1
	.section	.AMDGPU.gpr_maximums,"",@progbits
	.set amdgpu.max_num_vgpr, 0
	.set amdgpu.max_num_agpr, 0
	.set amdgpu.max_num_sgpr, 0
	.section	.AMDGPU.csdata,"",@progbits
	.type	__hip_cuid_636ed2d066b25815,@object ; @__hip_cuid_636ed2d066b25815
	.section	.bss,"aw",@nobits
	.globl	__hip_cuid_636ed2d066b25815
__hip_cuid_636ed2d066b25815:
	.byte	0                               ; 0x0
	.size	__hip_cuid_636ed2d066b25815, 1

	.ident	"AMD clang version 22.0.0git (https://github.com/RadeonOpenCompute/llvm-project roc-7.2.4 26084 f58b06dce1f9c15707c5f808fd002e18c2accf7e)"
	.section	".note.GNU-stack","",@progbits
	.addrsig
	.addrsig_sym __hip_cuid_636ed2d066b25815
	.amdgpu_metadata
---
amdhsa.kernels:
  - .args:
      - .address_space:  global
        .offset:         0
        .size:           8
        .value_kind:     global_buffer
      - .address_space:  global
        .offset:         8
        .size:           8
        .value_kind:     global_buffer
      - .address_space:  global
        .offset:         16
        .size:           8
        .value_kind:     global_buffer
      - .offset:         24
        .size:           4
        .value_kind:     by_value
      - .offset:         28
        .size:           4
        .value_kind:     by_value
      - .offset:         32
        .size:           4
        .value_kind:     by_value
      - .offset:         36
        .size:           4
        .value_kind:     by_value
      - .offset:         40
        .size:           8
        .value_kind:     by_value
      - .offset:         48
        .size:           8
        .value_kind:     by_value
      - .offset:         56
        .size:           8
        .value_kind:     by_value
      - .offset:         64
        .size:           4
        .value_kind:     hidden_block_count_x
      - .offset:         68
        .size:           4
        .value_kind:     hidden_block_count_y
      - .offset:         72
        .size:           4
        .value_kind:     hidden_block_count_z
      - .offset:         76
        .size:           2
        .value_kind:     hidden_group_size_x
      - .offset:         78
        .size:           2
        .value_kind:     hidden_group_size_y
      - .offset:         80
        .size:           2
        .value_kind:     hidden_group_size_z
      - .offset:         82
        .size:           2
        .value_kind:     hidden_remainder_x
      - .offset:         84
        .size:           2
        .value_kind:     hidden_remainder_y
      - .offset:         86
        .size:           2
        .value_kind:     hidden_remainder_z
      - .offset:         104
        .size:           8
        .value_kind:     hidden_global_offset_x
      - .offset:         112
        .size:           8
        .value_kind:     hidden_global_offset_y
      - .offset:         120
        .size:           8
        .value_kind:     hidden_global_offset_z
      - .offset:         128
        .size:           2
        .value_kind:     hidden_grid_dims
    .group_segment_fixed_size: 0
    .kernarg_segment_align: 8
    .kernarg_segment_size: 320
    .language:       OpenCL C
    .language_version:
      - 2
      - 0
    .max_flat_workgroup_size: 1024
    .name:           _ZN2at6native12_GLOBAL__N_115adaptivemaxpoolIdEEvPKT_PS3_Pliiiilll
    .private_segment_fixed_size: 0
    .sgpr_count:     58
    .sgpr_spill_count: 0
    .symbol:         _ZN2at6native12_GLOBAL__N_115adaptivemaxpoolIdEEvPKT_PS3_Pliiiilll.kd
    .uniform_work_group_size: 1
    .uses_dynamic_stack: false
    .vgpr_count:     34
    .vgpr_spill_count: 0
    .wavefront_size: 32
  - .args:
      - .address_space:  global
        .offset:         0
        .size:           8
        .value_kind:     global_buffer
      - .address_space:  global
        .offset:         8
        .size:           8
        .value_kind:     global_buffer
      - .address_space:  global
        .offset:         16
        .size:           8
        .value_kind:     global_buffer
      - .offset:         24
        .size:           4
        .value_kind:     by_value
      - .offset:         28
        .size:           4
        .value_kind:     by_value
      - .offset:         32
        .size:           4
        .value_kind:     by_value
      - .offset:         36
        .size:           4
        .value_kind:     by_value
      - .offset:         40
        .size:           8
        .value_kind:     by_value
      - .offset:         48
        .size:           8
        .value_kind:     by_value
      - .offset:         56
        .size:           8
        .value_kind:     by_value
      - .offset:         64
        .size:           4
        .value_kind:     hidden_block_count_x
      - .offset:         68
        .size:           4
        .value_kind:     hidden_block_count_y
      - .offset:         72
        .size:           4
        .value_kind:     hidden_block_count_z
      - .offset:         76
        .size:           2
        .value_kind:     hidden_group_size_x
      - .offset:         78
        .size:           2
        .value_kind:     hidden_group_size_y
      - .offset:         80
        .size:           2
        .value_kind:     hidden_group_size_z
      - .offset:         82
        .size:           2
        .value_kind:     hidden_remainder_x
      - .offset:         84
        .size:           2
        .value_kind:     hidden_remainder_y
      - .offset:         86
        .size:           2
        .value_kind:     hidden_remainder_z
      - .offset:         104
        .size:           8
        .value_kind:     hidden_global_offset_x
      - .offset:         112
        .size:           8
        .value_kind:     hidden_global_offset_y
      - .offset:         120
        .size:           8
        .value_kind:     hidden_global_offset_z
      - .offset:         128
        .size:           2
        .value_kind:     hidden_grid_dims
    .group_segment_fixed_size: 0
    .kernarg_segment_align: 8
    .kernarg_segment_size: 320
    .language:       OpenCL C
    .language_version:
      - 2
      - 0
    .max_flat_workgroup_size: 1024
    .name:           _ZN2at6native12_GLOBAL__N_115adaptivemaxpoolIfEEvPKT_PS3_Pliiiilll
    .private_segment_fixed_size: 0
    .sgpr_count:     58
    .sgpr_spill_count: 0
    .symbol:         _ZN2at6native12_GLOBAL__N_115adaptivemaxpoolIfEEvPKT_PS3_Pliiiilll.kd
    .uniform_work_group_size: 1
    .uses_dynamic_stack: false
    .vgpr_count:     34
    .vgpr_spill_count: 0
    .wavefront_size: 32
  - .args:
      - .address_space:  global
        .offset:         0
        .size:           8
        .value_kind:     global_buffer
      - .address_space:  global
        .offset:         8
        .size:           8
        .value_kind:     global_buffer
      - .address_space:  global
        .offset:         16
        .size:           8
        .value_kind:     global_buffer
      - .offset:         24
        .size:           4
        .value_kind:     by_value
      - .offset:         28
        .size:           4
        .value_kind:     by_value
      - .offset:         32
        .size:           4
        .value_kind:     by_value
      - .offset:         36
        .size:           4
        .value_kind:     by_value
      - .offset:         40
        .size:           8
        .value_kind:     by_value
      - .offset:         48
        .size:           8
        .value_kind:     by_value
      - .offset:         56
        .size:           8
        .value_kind:     by_value
      - .offset:         64
        .size:           4
        .value_kind:     hidden_block_count_x
      - .offset:         68
        .size:           4
        .value_kind:     hidden_block_count_y
      - .offset:         72
        .size:           4
        .value_kind:     hidden_block_count_z
      - .offset:         76
        .size:           2
        .value_kind:     hidden_group_size_x
      - .offset:         78
        .size:           2
        .value_kind:     hidden_group_size_y
      - .offset:         80
        .size:           2
        .value_kind:     hidden_group_size_z
      - .offset:         82
        .size:           2
        .value_kind:     hidden_remainder_x
      - .offset:         84
        .size:           2
        .value_kind:     hidden_remainder_y
      - .offset:         86
        .size:           2
        .value_kind:     hidden_remainder_z
      - .offset:         104
        .size:           8
        .value_kind:     hidden_global_offset_x
      - .offset:         112
        .size:           8
        .value_kind:     hidden_global_offset_y
      - .offset:         120
        .size:           8
        .value_kind:     hidden_global_offset_z
      - .offset:         128
        .size:           2
        .value_kind:     hidden_grid_dims
    .group_segment_fixed_size: 0
    .kernarg_segment_align: 8
    .kernarg_segment_size: 320
    .language:       OpenCL C
    .language_version:
      - 2
      - 0
    .max_flat_workgroup_size: 1024
    .name:           _ZN2at6native12_GLOBAL__N_115adaptivemaxpoolIN3c104HalfEEEvPKT_PS5_Pliiiilll
    .private_segment_fixed_size: 0
    .sgpr_count:     58
    .sgpr_spill_count: 0
    .symbol:         _ZN2at6native12_GLOBAL__N_115adaptivemaxpoolIN3c104HalfEEEvPKT_PS5_Pliiiilll.kd
    .uniform_work_group_size: 1
    .uses_dynamic_stack: false
    .vgpr_count:     34
    .vgpr_spill_count: 0
    .wavefront_size: 32
  - .args:
      - .address_space:  global
        .offset:         0
        .size:           8
        .value_kind:     global_buffer
      - .address_space:  global
        .offset:         8
        .size:           8
        .value_kind:     global_buffer
      - .address_space:  global
        .offset:         16
        .size:           8
        .value_kind:     global_buffer
      - .offset:         24
        .size:           4
        .value_kind:     by_value
      - .offset:         28
        .size:           4
        .value_kind:     by_value
      - .offset:         32
        .size:           4
        .value_kind:     by_value
      - .offset:         36
        .size:           4
        .value_kind:     by_value
      - .offset:         40
        .size:           8
        .value_kind:     by_value
      - .offset:         48
        .size:           8
        .value_kind:     by_value
      - .offset:         56
        .size:           8
        .value_kind:     by_value
      - .offset:         64
        .size:           4
        .value_kind:     hidden_block_count_x
      - .offset:         68
        .size:           4
        .value_kind:     hidden_block_count_y
      - .offset:         72
        .size:           4
        .value_kind:     hidden_block_count_z
      - .offset:         76
        .size:           2
        .value_kind:     hidden_group_size_x
      - .offset:         78
        .size:           2
        .value_kind:     hidden_group_size_y
      - .offset:         80
        .size:           2
        .value_kind:     hidden_group_size_z
      - .offset:         82
        .size:           2
        .value_kind:     hidden_remainder_x
      - .offset:         84
        .size:           2
        .value_kind:     hidden_remainder_y
      - .offset:         86
        .size:           2
        .value_kind:     hidden_remainder_z
      - .offset:         104
        .size:           8
        .value_kind:     hidden_global_offset_x
      - .offset:         112
        .size:           8
        .value_kind:     hidden_global_offset_y
      - .offset:         120
        .size:           8
        .value_kind:     hidden_global_offset_z
      - .offset:         128
        .size:           2
        .value_kind:     hidden_grid_dims
    .group_segment_fixed_size: 0
    .kernarg_segment_align: 8
    .kernarg_segment_size: 320
    .language:       OpenCL C
    .language_version:
      - 2
      - 0
    .max_flat_workgroup_size: 1024
    .name:           _ZN2at6native12_GLOBAL__N_115adaptivemaxpoolIN3c108BFloat16EEEvPKT_PS5_Pliiiilll
    .private_segment_fixed_size: 0
    .sgpr_count:     58
    .sgpr_spill_count: 0
    .symbol:         _ZN2at6native12_GLOBAL__N_115adaptivemaxpoolIN3c108BFloat16EEEvPKT_PS5_Pliiiilll.kd
    .uniform_work_group_size: 1
    .uses_dynamic_stack: false
    .vgpr_count:     34
    .vgpr_spill_count: 0
    .wavefront_size: 32
  - .args:
      - .address_space:  global
        .offset:         0
        .size:           8
        .value_kind:     global_buffer
      - .address_space:  global
        .offset:         8
        .size:           8
        .value_kind:     global_buffer
      - .address_space:  global
        .offset:         16
        .size:           8
        .value_kind:     global_buffer
      - .offset:         24
        .size:           4
        .value_kind:     by_value
      - .offset:         28
        .size:           4
        .value_kind:     by_value
      - .offset:         32
        .size:           4
        .value_kind:     by_value
      - .offset:         36
        .size:           4
        .value_kind:     by_value
      - .offset:         40
        .size:           4
        .value_kind:     hidden_block_count_x
      - .offset:         44
        .size:           4
        .value_kind:     hidden_block_count_y
      - .offset:         48
        .size:           4
        .value_kind:     hidden_block_count_z
      - .offset:         52
        .size:           2
        .value_kind:     hidden_group_size_x
      - .offset:         54
        .size:           2
        .value_kind:     hidden_group_size_y
      - .offset:         56
        .size:           2
        .value_kind:     hidden_group_size_z
      - .offset:         58
        .size:           2
        .value_kind:     hidden_remainder_x
      - .offset:         60
        .size:           2
        .value_kind:     hidden_remainder_y
      - .offset:         62
        .size:           2
        .value_kind:     hidden_remainder_z
      - .offset:         80
        .size:           8
        .value_kind:     hidden_global_offset_x
      - .offset:         88
        .size:           8
        .value_kind:     hidden_global_offset_y
      - .offset:         96
        .size:           8
        .value_kind:     hidden_global_offset_z
      - .offset:         104
        .size:           2
        .value_kind:     hidden_grid_dims
    .group_segment_fixed_size: 0
    .kernarg_segment_align: 8
    .kernarg_segment_size: 296
    .language:       OpenCL C
    .language_version:
      - 2
      - 0
    .max_flat_workgroup_size: 1024
    .name:           _ZN2at6native12_GLOBAL__N_126atomicadaptivemaxgradinputIdEEvPT_PKS3_PKliiii
    .private_segment_fixed_size: 0
    .sgpr_count:     21
    .sgpr_spill_count: 0
    .symbol:         _ZN2at6native12_GLOBAL__N_126atomicadaptivemaxgradinputIdEEvPT_PKS3_PKliiii.kd
    .uniform_work_group_size: 1
    .uses_dynamic_stack: false
    .vgpr_count:     14
    .vgpr_spill_count: 0
    .wavefront_size: 32
  - .args:
      - .address_space:  global
        .offset:         0
        .size:           8
        .value_kind:     global_buffer
      - .address_space:  global
        .offset:         8
        .size:           8
        .value_kind:     global_buffer
      - .address_space:  global
        .offset:         16
        .size:           8
        .value_kind:     global_buffer
      - .offset:         24
        .size:           4
        .value_kind:     by_value
      - .offset:         28
        .size:           4
        .value_kind:     by_value
      - .offset:         32
        .size:           4
        .value_kind:     by_value
      - .offset:         36
        .size:           4
        .value_kind:     by_value
      - .offset:         40
        .size:           4
        .value_kind:     hidden_block_count_x
      - .offset:         44
        .size:           4
        .value_kind:     hidden_block_count_y
      - .offset:         48
        .size:           4
        .value_kind:     hidden_block_count_z
      - .offset:         52
        .size:           2
        .value_kind:     hidden_group_size_x
      - .offset:         54
        .size:           2
        .value_kind:     hidden_group_size_y
      - .offset:         56
        .size:           2
        .value_kind:     hidden_group_size_z
      - .offset:         58
        .size:           2
        .value_kind:     hidden_remainder_x
      - .offset:         60
        .size:           2
        .value_kind:     hidden_remainder_y
      - .offset:         62
        .size:           2
        .value_kind:     hidden_remainder_z
      - .offset:         80
        .size:           8
        .value_kind:     hidden_global_offset_x
      - .offset:         88
        .size:           8
        .value_kind:     hidden_global_offset_y
      - .offset:         96
        .size:           8
        .value_kind:     hidden_global_offset_z
      - .offset:         104
        .size:           2
        .value_kind:     hidden_grid_dims
    .group_segment_fixed_size: 0
    .kernarg_segment_align: 8
    .kernarg_segment_size: 296
    .language:       OpenCL C
    .language_version:
      - 2
      - 0
    .max_flat_workgroup_size: 1024
    .name:           _ZN2at6native12_GLOBAL__N_120adaptivemaxgradinputIdEEvPT_PKS3_PKliiii
    .private_segment_fixed_size: 0
    .sgpr_count:     21
    .sgpr_spill_count: 0
    .symbol:         _ZN2at6native12_GLOBAL__N_120adaptivemaxgradinputIdEEvPT_PKS3_PKliiii.kd
    .uniform_work_group_size: 1
    .uses_dynamic_stack: false
    .vgpr_count:     18
    .vgpr_spill_count: 0
    .wavefront_size: 32
  - .args:
      - .address_space:  global
        .offset:         0
        .size:           8
        .value_kind:     global_buffer
      - .address_space:  global
        .offset:         8
        .size:           8
        .value_kind:     global_buffer
      - .address_space:  global
        .offset:         16
        .size:           8
        .value_kind:     global_buffer
      - .offset:         24
        .size:           4
        .value_kind:     by_value
      - .offset:         28
        .size:           4
        .value_kind:     by_value
      - .offset:         32
        .size:           4
        .value_kind:     by_value
      - .offset:         36
        .size:           4
        .value_kind:     by_value
      - .offset:         40
        .size:           4
        .value_kind:     hidden_block_count_x
      - .offset:         44
        .size:           4
        .value_kind:     hidden_block_count_y
      - .offset:         48
        .size:           4
        .value_kind:     hidden_block_count_z
      - .offset:         52
        .size:           2
        .value_kind:     hidden_group_size_x
      - .offset:         54
        .size:           2
        .value_kind:     hidden_group_size_y
      - .offset:         56
        .size:           2
        .value_kind:     hidden_group_size_z
      - .offset:         58
        .size:           2
        .value_kind:     hidden_remainder_x
      - .offset:         60
        .size:           2
        .value_kind:     hidden_remainder_y
      - .offset:         62
        .size:           2
        .value_kind:     hidden_remainder_z
      - .offset:         80
        .size:           8
        .value_kind:     hidden_global_offset_x
      - .offset:         88
        .size:           8
        .value_kind:     hidden_global_offset_y
      - .offset:         96
        .size:           8
        .value_kind:     hidden_global_offset_z
      - .offset:         104
        .size:           2
        .value_kind:     hidden_grid_dims
    .group_segment_fixed_size: 0
    .kernarg_segment_align: 8
    .kernarg_segment_size: 296
    .language:       OpenCL C
    .language_version:
      - 2
      - 0
    .max_flat_workgroup_size: 1024
    .name:           _ZN2at6native12_GLOBAL__N_126atomicadaptivemaxgradinputIfEEvPT_PKS3_PKliiii
    .private_segment_fixed_size: 0
    .sgpr_count:     21
    .sgpr_spill_count: 0
    .symbol:         _ZN2at6native12_GLOBAL__N_126atomicadaptivemaxgradinputIfEEvPT_PKS3_PKliiii.kd
    .uniform_work_group_size: 1
    .uses_dynamic_stack: false
    .vgpr_count:     17
    .vgpr_spill_count: 0
    .wavefront_size: 32
  - .args:
      - .address_space:  global
        .offset:         0
        .size:           8
        .value_kind:     global_buffer
      - .address_space:  global
        .offset:         8
        .size:           8
        .value_kind:     global_buffer
      - .address_space:  global
        .offset:         16
        .size:           8
        .value_kind:     global_buffer
      - .offset:         24
        .size:           4
        .value_kind:     by_value
      - .offset:         28
        .size:           4
        .value_kind:     by_value
      - .offset:         32
        .size:           4
        .value_kind:     by_value
      - .offset:         36
        .size:           4
        .value_kind:     by_value
      - .offset:         40
        .size:           4
        .value_kind:     hidden_block_count_x
      - .offset:         44
        .size:           4
        .value_kind:     hidden_block_count_y
      - .offset:         48
        .size:           4
        .value_kind:     hidden_block_count_z
      - .offset:         52
        .size:           2
        .value_kind:     hidden_group_size_x
      - .offset:         54
        .size:           2
        .value_kind:     hidden_group_size_y
      - .offset:         56
        .size:           2
        .value_kind:     hidden_group_size_z
      - .offset:         58
        .size:           2
        .value_kind:     hidden_remainder_x
      - .offset:         60
        .size:           2
        .value_kind:     hidden_remainder_y
      - .offset:         62
        .size:           2
        .value_kind:     hidden_remainder_z
      - .offset:         80
        .size:           8
        .value_kind:     hidden_global_offset_x
      - .offset:         88
        .size:           8
        .value_kind:     hidden_global_offset_y
      - .offset:         96
        .size:           8
        .value_kind:     hidden_global_offset_z
      - .offset:         104
        .size:           2
        .value_kind:     hidden_grid_dims
    .group_segment_fixed_size: 0
    .kernarg_segment_align: 8
    .kernarg_segment_size: 296
    .language:       OpenCL C
    .language_version:
      - 2
      - 0
    .max_flat_workgroup_size: 1024
    .name:           _ZN2at6native12_GLOBAL__N_120adaptivemaxgradinputIfEEvPT_PKS3_PKliiii
    .private_segment_fixed_size: 0
    .sgpr_count:     21
    .sgpr_spill_count: 0
    .symbol:         _ZN2at6native12_GLOBAL__N_120adaptivemaxgradinputIfEEvPT_PKS3_PKliiii.kd
    .uniform_work_group_size: 1
    .uses_dynamic_stack: false
    .vgpr_count:     17
    .vgpr_spill_count: 0
    .wavefront_size: 32
  - .args:
      - .address_space:  global
        .offset:         0
        .size:           8
        .value_kind:     global_buffer
      - .address_space:  global
        .offset:         8
        .size:           8
        .value_kind:     global_buffer
      - .address_space:  global
        .offset:         16
        .size:           8
        .value_kind:     global_buffer
      - .offset:         24
        .size:           4
        .value_kind:     by_value
      - .offset:         28
        .size:           4
        .value_kind:     by_value
      - .offset:         32
        .size:           4
        .value_kind:     by_value
      - .offset:         36
        .size:           4
        .value_kind:     by_value
      - .offset:         40
        .size:           4
        .value_kind:     hidden_block_count_x
      - .offset:         44
        .size:           4
        .value_kind:     hidden_block_count_y
      - .offset:         48
        .size:           4
        .value_kind:     hidden_block_count_z
      - .offset:         52
        .size:           2
        .value_kind:     hidden_group_size_x
      - .offset:         54
        .size:           2
        .value_kind:     hidden_group_size_y
      - .offset:         56
        .size:           2
        .value_kind:     hidden_group_size_z
      - .offset:         58
        .size:           2
        .value_kind:     hidden_remainder_x
      - .offset:         60
        .size:           2
        .value_kind:     hidden_remainder_y
      - .offset:         62
        .size:           2
        .value_kind:     hidden_remainder_z
      - .offset:         80
        .size:           8
        .value_kind:     hidden_global_offset_x
      - .offset:         88
        .size:           8
        .value_kind:     hidden_global_offset_y
      - .offset:         96
        .size:           8
        .value_kind:     hidden_global_offset_z
      - .offset:         104
        .size:           2
        .value_kind:     hidden_grid_dims
    .group_segment_fixed_size: 0
    .kernarg_segment_align: 8
    .kernarg_segment_size: 296
    .language:       OpenCL C
    .language_version:
      - 2
      - 0
    .max_flat_workgroup_size: 1024
    .name:           _ZN2at6native12_GLOBAL__N_126atomicadaptivemaxgradinputIN3c104HalfEEEvPT_PKS5_PKliiii
    .private_segment_fixed_size: 0
    .sgpr_count:     22
    .sgpr_spill_count: 0
    .symbol:         _ZN2at6native12_GLOBAL__N_126atomicadaptivemaxgradinputIN3c104HalfEEEvPT_PKS5_PKliiii.kd
    .uniform_work_group_size: 1
    .uses_dynamic_stack: false
    .vgpr_count:     18
    .vgpr_spill_count: 0
    .wavefront_size: 32
  - .args:
      - .address_space:  global
        .offset:         0
        .size:           8
        .value_kind:     global_buffer
      - .address_space:  global
        .offset:         8
        .size:           8
        .value_kind:     global_buffer
      - .address_space:  global
        .offset:         16
        .size:           8
        .value_kind:     global_buffer
      - .offset:         24
        .size:           4
        .value_kind:     by_value
      - .offset:         28
        .size:           4
        .value_kind:     by_value
      - .offset:         32
        .size:           4
        .value_kind:     by_value
      - .offset:         36
        .size:           4
        .value_kind:     by_value
      - .offset:         40
        .size:           4
        .value_kind:     hidden_block_count_x
      - .offset:         44
        .size:           4
        .value_kind:     hidden_block_count_y
      - .offset:         48
        .size:           4
        .value_kind:     hidden_block_count_z
      - .offset:         52
        .size:           2
        .value_kind:     hidden_group_size_x
      - .offset:         54
        .size:           2
        .value_kind:     hidden_group_size_y
      - .offset:         56
        .size:           2
        .value_kind:     hidden_group_size_z
      - .offset:         58
        .size:           2
        .value_kind:     hidden_remainder_x
      - .offset:         60
        .size:           2
        .value_kind:     hidden_remainder_y
      - .offset:         62
        .size:           2
        .value_kind:     hidden_remainder_z
      - .offset:         80
        .size:           8
        .value_kind:     hidden_global_offset_x
      - .offset:         88
        .size:           8
        .value_kind:     hidden_global_offset_y
      - .offset:         96
        .size:           8
        .value_kind:     hidden_global_offset_z
      - .offset:         104
        .size:           2
        .value_kind:     hidden_grid_dims
    .group_segment_fixed_size: 0
    .kernarg_segment_align: 8
    .kernarg_segment_size: 296
    .language:       OpenCL C
    .language_version:
      - 2
      - 0
    .max_flat_workgroup_size: 1024
    .name:           _ZN2at6native12_GLOBAL__N_120adaptivemaxgradinputIN3c104HalfEEEvPT_PKS5_PKliiii
    .private_segment_fixed_size: 0
    .sgpr_count:     21
    .sgpr_spill_count: 0
    .symbol:         _ZN2at6native12_GLOBAL__N_120adaptivemaxgradinputIN3c104HalfEEEvPT_PKS5_PKliiii.kd
    .uniform_work_group_size: 1
    .uses_dynamic_stack: false
    .vgpr_count:     17
    .vgpr_spill_count: 0
    .wavefront_size: 32
  - .args:
      - .address_space:  global
        .offset:         0
        .size:           8
        .value_kind:     global_buffer
      - .address_space:  global
        .offset:         8
        .size:           8
        .value_kind:     global_buffer
      - .address_space:  global
        .offset:         16
        .size:           8
        .value_kind:     global_buffer
      - .offset:         24
        .size:           4
        .value_kind:     by_value
      - .offset:         28
        .size:           4
        .value_kind:     by_value
      - .offset:         32
        .size:           4
        .value_kind:     by_value
      - .offset:         36
        .size:           4
        .value_kind:     by_value
      - .offset:         40
        .size:           4
        .value_kind:     hidden_block_count_x
      - .offset:         44
        .size:           4
        .value_kind:     hidden_block_count_y
      - .offset:         48
        .size:           4
        .value_kind:     hidden_block_count_z
      - .offset:         52
        .size:           2
        .value_kind:     hidden_group_size_x
      - .offset:         54
        .size:           2
        .value_kind:     hidden_group_size_y
      - .offset:         56
        .size:           2
        .value_kind:     hidden_group_size_z
      - .offset:         58
        .size:           2
        .value_kind:     hidden_remainder_x
      - .offset:         60
        .size:           2
        .value_kind:     hidden_remainder_y
      - .offset:         62
        .size:           2
        .value_kind:     hidden_remainder_z
      - .offset:         80
        .size:           8
        .value_kind:     hidden_global_offset_x
      - .offset:         88
        .size:           8
        .value_kind:     hidden_global_offset_y
      - .offset:         96
        .size:           8
        .value_kind:     hidden_global_offset_z
      - .offset:         104
        .size:           2
        .value_kind:     hidden_grid_dims
    .group_segment_fixed_size: 0
    .kernarg_segment_align: 8
    .kernarg_segment_size: 296
    .language:       OpenCL C
    .language_version:
      - 2
      - 0
    .max_flat_workgroup_size: 1024
    .name:           _ZN2at6native12_GLOBAL__N_126atomicadaptivemaxgradinputIN3c108BFloat16EEEvPT_PKS5_PKliiii
    .private_segment_fixed_size: 0
    .sgpr_count:     22
    .sgpr_spill_count: 0
    .symbol:         _ZN2at6native12_GLOBAL__N_126atomicadaptivemaxgradinputIN3c108BFloat16EEEvPT_PKS5_PKliiii.kd
    .uniform_work_group_size: 1
    .uses_dynamic_stack: false
    .vgpr_count:     16
    .vgpr_spill_count: 0
    .wavefront_size: 32
  - .args:
      - .address_space:  global
        .offset:         0
        .size:           8
        .value_kind:     global_buffer
      - .address_space:  global
        .offset:         8
        .size:           8
        .value_kind:     global_buffer
      - .address_space:  global
        .offset:         16
        .size:           8
        .value_kind:     global_buffer
      - .offset:         24
        .size:           4
        .value_kind:     by_value
      - .offset:         28
        .size:           4
        .value_kind:     by_value
      - .offset:         32
        .size:           4
        .value_kind:     by_value
      - .offset:         36
        .size:           4
        .value_kind:     by_value
      - .offset:         40
        .size:           4
        .value_kind:     hidden_block_count_x
      - .offset:         44
        .size:           4
        .value_kind:     hidden_block_count_y
      - .offset:         48
        .size:           4
        .value_kind:     hidden_block_count_z
      - .offset:         52
        .size:           2
        .value_kind:     hidden_group_size_x
      - .offset:         54
        .size:           2
        .value_kind:     hidden_group_size_y
      - .offset:         56
        .size:           2
        .value_kind:     hidden_group_size_z
      - .offset:         58
        .size:           2
        .value_kind:     hidden_remainder_x
      - .offset:         60
        .size:           2
        .value_kind:     hidden_remainder_y
      - .offset:         62
        .size:           2
        .value_kind:     hidden_remainder_z
      - .offset:         80
        .size:           8
        .value_kind:     hidden_global_offset_x
      - .offset:         88
        .size:           8
        .value_kind:     hidden_global_offset_y
      - .offset:         96
        .size:           8
        .value_kind:     hidden_global_offset_z
      - .offset:         104
        .size:           2
        .value_kind:     hidden_grid_dims
    .group_segment_fixed_size: 0
    .kernarg_segment_align: 8
    .kernarg_segment_size: 296
    .language:       OpenCL C
    .language_version:
      - 2
      - 0
    .max_flat_workgroup_size: 1024
    .name:           _ZN2at6native12_GLOBAL__N_120adaptivemaxgradinputIN3c108BFloat16EEEvPT_PKS5_PKliiii
    .private_segment_fixed_size: 0
    .sgpr_count:     20
    .sgpr_spill_count: 0
    .symbol:         _ZN2at6native12_GLOBAL__N_120adaptivemaxgradinputIN3c108BFloat16EEEvPT_PKS5_PKliiii.kd
    .uniform_work_group_size: 1
    .uses_dynamic_stack: false
    .vgpr_count:     17
    .vgpr_spill_count: 0
    .wavefront_size: 32
amdhsa.target:   amdgcn-amd-amdhsa--gfx1250
amdhsa.version:
  - 1
  - 2
...

	.end_amdgpu_metadata
